;; amdgpu-corpus repo=ROCm/rocFFT kind=compiled arch=gfx1100 opt=O3
	.text
	.amdgcn_target "amdgcn-amd-amdhsa--gfx1100"
	.amdhsa_code_object_version 6
	.protected	bluestein_single_back_len1300_dim1_dp_op_CI_CI ; -- Begin function bluestein_single_back_len1300_dim1_dp_op_CI_CI
	.globl	bluestein_single_back_len1300_dim1_dp_op_CI_CI
	.p2align	8
	.type	bluestein_single_back_len1300_dim1_dp_op_CI_CI,@function
bluestein_single_back_len1300_dim1_dp_op_CI_CI: ; @bluestein_single_back_len1300_dim1_dp_op_CI_CI
; %bb.0:
	s_load_b128 s[16:19], s[0:1], 0x28
	v_mul_u32_u24_e32 v1, 0x1f9, v0
	s_mov_b32 s2, exec_lo
	v_mov_b32_e32 v8, 0
	s_delay_alu instid0(VALU_DEP_2) | instskip(NEXT) | instid1(VALU_DEP_1)
	v_lshrrev_b32_e32 v1, 16, v1
	v_add_nc_u32_e32 v7, s15, v1
	s_waitcnt lgkmcnt(0)
	s_delay_alu instid0(VALU_DEP_1)
	v_cmpx_gt_u64_e64 s[16:17], v[7:8]
	s_cbranch_execz .LBB0_10
; %bb.1:
	s_clause 0x1
	s_load_b128 s[4:7], s[0:1], 0x18
	s_load_b128 s[8:11], s[0:1], 0x0
	v_mul_lo_u16 v1, 0x82, v1
	v_mov_b32_e32 v5, v7
	s_mov_b32 s16, 0x372fe950
	s_mov_b32 s17, 0x3fd3c6ef
	s_delay_alu instid0(VALU_DEP_2) | instskip(NEXT) | instid1(VALU_DEP_1)
	v_sub_nc_u16 v0, v0, v1
	v_and_b32_e32 v17, 0xffff, v0
	s_delay_alu instid0(VALU_DEP_1)
	v_lshlrev_b32_e32 v11, 4, v17
	s_waitcnt lgkmcnt(0)
	s_load_b128 s[12:15], s[4:5], 0x0
	s_clause 0x1
	global_load_b128 v[18:21], v11, s[8:9]
	global_load_b128 v[22:25], v11, s[8:9] offset:2080
	scratch_store_b64 off, v[5:6], off      ; 8-byte Folded Spill
	s_waitcnt lgkmcnt(0)
	v_mad_u64_u32 v[1:2], null, s14, v7, 0
	v_mad_u64_u32 v[3:4], null, s12, v17, 0
	s_mul_hi_u32 s3, s12, 0x820
	s_mul_i32 s4, s12, 0x820
	s_delay_alu instid0(VALU_DEP_1) | instskip(SKIP_3) | instid1(VALU_DEP_1)
	v_mad_u64_u32 v[5:6], null, s15, v7, v[2:3]
	s_mov_b32 s14, 0x4755a5e
	s_mov_b32 s15, 0x3fe2cf23
	;; [unrolled: 1-line block ×3, first 2 shown]
	v_mov_b32_e32 v2, v5
	v_mad_u64_u32 v[8:9], null, s13, v17, v[4:5]
	s_delay_alu instid0(VALU_DEP_2) | instskip(NEXT) | instid1(VALU_DEP_2)
	v_lshlrev_b64 v[1:2], 4, v[1:2]
	v_mov_b32_e32 v4, v8
	v_add_co_u32 v164, s2, s8, v11
	s_delay_alu instid0(VALU_DEP_1) | instskip(NEXT) | instid1(VALU_DEP_3)
	v_add_co_ci_u32_e64 v255, null, s9, 0, s2
	v_lshlrev_b64 v[3:4], 4, v[3:4]
	s_delay_alu instid0(VALU_DEP_3) | instskip(NEXT) | instid1(VALU_DEP_3)
	v_add_co_u32 v6, vcc_lo, 0x1000, v164
	v_add_co_ci_u32_e32 v7, vcc_lo, 0, v255, vcc_lo
	v_add_co_u32 v9, vcc_lo, 0x2000, v164
	v_add_co_ci_u32_e32 v10, vcc_lo, 0, v255, vcc_lo
	;; [unrolled: 2-line block ×5, first 2 shown]
	s_mul_i32 s2, s13, 0x820
	s_delay_alu instid0(VALU_DEP_2) | instskip(NEXT) | instid1(VALU_DEP_2)
	v_add_co_u32 v1, vcc_lo, v1, v3
	v_add_co_ci_u32_e32 v2, vcc_lo, v2, v4, vcc_lo
	s_add_i32 s3, s3, s2
	s_delay_alu instid0(VALU_DEP_2) | instskip(NEXT) | instid1(VALU_DEP_2)
	v_add_co_u32 v14, vcc_lo, v1, s4
	v_add_co_ci_u32_e32 v15, vcc_lo, s3, v2, vcc_lo
	s_clause 0x1
	global_load_b128 v[114:117], v[6:7], off offset:64
	global_load_b128 v[26:29], v[6:7], off offset:2144
	v_add_co_u32 v32, vcc_lo, v14, s4
	v_add_co_ci_u32_e32 v33, vcc_lo, s3, v15, vcc_lo
	s_clause 0x1
	global_load_b128 v[118:121], v[9:10], off offset:128
	global_load_b128 v[106:109], v[9:10], off offset:2208
	;; [unrolled: 5-line block ×3, first 2 shown]
	v_add_co_u32 v34, vcc_lo, v9, s4
	v_add_co_ci_u32_e32 v35, vcc_lo, s3, v10, vcc_lo
	s_clause 0x1
	global_load_b128 v[1:4], v[1:2], off
	global_load_b128 v[5:8], v[14:15], off
	v_add_co_u32 v38, vcc_lo, v34, s4
	v_add_co_ci_u32_e32 v39, vcc_lo, s3, v35, vcc_lo
	global_load_b128 v[12:15], v[32:33], off
	v_add_co_u32 v32, vcc_lo, v38, s4
	v_add_co_ci_u32_e32 v33, vcc_lo, s3, v39, vcc_lo
	s_clause 0x1
	global_load_b128 v[40:43], v[9:10], off
	global_load_b128 v[44:47], v[34:35], off
	v_add_co_u32 v9, vcc_lo, v32, s4
	v_add_co_ci_u32_e32 v10, vcc_lo, s3, v33, vcc_lo
	global_load_b128 v[48:51], v[38:39], off
	v_add_co_u32 v34, vcc_lo, v9, s4
	v_add_co_ci_u32_e32 v35, vcc_lo, s3, v10, vcc_lo
	;; [unrolled: 3-line block ×3, first 2 shown]
	global_load_b128 v[56:59], v[9:10], off
	global_load_b128 v[60:63], v[34:35], off
	s_clause 0x1
	global_load_b128 v[30:33], v[36:37], off offset:256
	global_load_b128 v[34:37], v[36:37], off offset:2336
	global_load_b128 v[64:67], v[64:65], off
	s_load_b128 s[4:7], s[6:7], 0x0
	s_mov_b32 s8, 0x134454ff
	s_mov_b32 s9, 0x3fee6f0e
	;; [unrolled: 1-line block ×7, first 2 shown]
	v_cmp_gt_u16_e32 vcc_lo, 0x64, v0
	s_waitcnt vmcnt(19)
	scratch_store_b128 off, v[18:21], off offset:12 ; 16-byte Folded Spill
	s_waitcnt vmcnt(18)
	scratch_store_b128 off, v[22:25], off offset:28 ; 16-byte Folded Spill
	;; [unrolled: 2-line block ×8, first 2 shown]
	s_waitcnt vmcnt(11)
	v_mul_f64 v[9:10], v[3:4], v[20:21]
	v_mul_f64 v[68:69], v[1:2], v[20:21]
	s_waitcnt vmcnt(10)
	v_mul_f64 v[70:71], v[7:8], v[24:25]
	v_mul_f64 v[72:73], v[5:6], v[24:25]
	;; [unrolled: 3-line block ×10, first 2 shown]
	s_clause 0x1
	scratch_store_b128 off, v[30:33], off offset:140
	scratch_store_b128 off, v[34:37], off offset:156
	v_fma_f64 v[1:2], v[1:2], v[18:19], v[9:10]
	v_fma_f64 v[3:4], v[3:4], v[18:19], -v[68:69]
	v_fma_f64 v[5:6], v[5:6], v[22:23], v[70:71]
	v_fma_f64 v[7:8], v[7:8], v[22:23], -v[72:73]
	;; [unrolled: 2-line block ×10, first 2 shown]
	ds_store_b128 v11, v[1:4]
	ds_store_b128 v11, v[5:8] offset:2080
	ds_store_b128 v11, v[12:15] offset:4160
	ds_store_b128 v11, v[40:43] offset:6240
	ds_store_b128 v11, v[44:47] offset:8320
	ds_store_b128 v11, v[48:51] offset:10400
	ds_store_b128 v11, v[52:55] offset:12480
	ds_store_b128 v11, v[56:59] offset:14560
	ds_store_b128 v11, v[60:63] offset:16640
	ds_store_b128 v11, v[64:67] offset:18720
	s_waitcnt lgkmcnt(0)
	s_waitcnt_vscnt null, 0x0
	s_barrier
	buffer_gl0_inv
	ds_load_b128 v[1:4], v11 offset:6240
	ds_load_b128 v[5:8], v11 offset:10400
	ds_load_b128 v[12:15], v11 offset:14560
	ds_load_b128 v[40:43], v11 offset:18720
	ds_load_b128 v[44:47], v11 offset:2080
	s_waitcnt lgkmcnt(3)
	v_add_f64 v[90:91], v[1:2], -v[5:6]
	s_waitcnt lgkmcnt(2)
	v_add_f64 v[9:10], v[5:6], v[12:13]
	s_waitcnt lgkmcnt(1)
	v_add_f64 v[48:49], v[3:4], v[42:43]
	v_add_f64 v[50:51], v[1:2], v[40:41]
	;; [unrolled: 1-line block ×3, first 2 shown]
	v_add_f64 v[68:69], v[3:4], -v[42:43]
	v_add_f64 v[72:73], v[5:6], -v[12:13]
	;; [unrolled: 1-line block ×11, first 2 shown]
	s_waitcnt lgkmcnt(0)
	v_add_f64 v[1:2], v[44:45], v[1:2]
	v_add_f64 v[3:4], v[46:47], v[3:4]
	v_fma_f64 v[9:10], v[9:10], -0.5, v[44:45]
	v_fma_f64 v[74:75], v[48:49], -0.5, v[46:47]
	;; [unrolled: 1-line block ×4, first 2 shown]
	ds_load_b128 v[48:51], v11 offset:4160
	ds_load_b128 v[52:55], v11 offset:8320
	;; [unrolled: 1-line block ×4, first 2 shown]
	ds_load_b128 v[64:67], v11
	s_waitcnt lgkmcnt(0)
	s_barrier
	buffer_gl0_inv
	v_add_f64 v[1:2], v[1:2], v[5:6]
	v_add_f64 v[3:4], v[3:4], v[7:8]
	;; [unrolled: 1-line block ×8, first 2 shown]
	v_add_f64 v[116:117], v[50:51], -v[62:63]
	v_add_f64 v[118:119], v[54:55], -v[58:59]
	;; [unrolled: 1-line block ×4, first 2 shown]
	v_fma_f64 v[104:105], v[68:69], s[8:9], v[9:10]
	v_fma_f64 v[106:107], v[72:73], s[8:9], v[74:75]
	;; [unrolled: 1-line block ×8, first 2 shown]
	v_add_f64 v[1:2], v[1:2], v[12:13]
	v_add_f64 v[3:4], v[3:4], v[14:15]
	v_fma_f64 v[44:45], v[82:83], -0.5, v[64:65]
	v_fma_f64 v[64:65], v[84:85], -0.5, v[64:65]
	;; [unrolled: 1-line block ×4, first 2 shown]
	v_add_f64 v[84:85], v[90:91], v[92:93]
	v_add_f64 v[88:89], v[98:99], v[100:101]
	v_add_f64 v[86:87], v[94:95], v[96:97]
	v_add_f64 v[100:101], v[50:51], -v[54:55]
	v_add_f64 v[50:51], v[54:55], -v[50:51]
	v_add_f64 v[54:55], v[120:121], v[54:55]
	v_add_f64 v[96:97], v[60:61], -v[56:57]
	v_add_f64 v[98:99], v[56:57], -v[60:61]
	v_fma_f64 v[90:91], v[70:71], s[14:15], v[104:105]
	v_fma_f64 v[92:93], v[78:79], s[12:13], v[106:107]
	;; [unrolled: 1-line block ×6, first 2 shown]
	v_add_f64 v[70:71], v[102:103], v[110:111]
	v_fma_f64 v[76:77], v[72:73], s[14:15], v[112:113]
	v_add_f64 v[78:79], v[48:49], -v[52:53]
	v_add_f64 v[48:49], v[52:53], -v[48:49]
	v_add_f64 v[52:53], v[114:115], v[52:53]
	v_add_f64 v[102:103], v[62:63], -v[58:59]
	v_add_f64 v[104:105], v[58:59], -v[62:63]
	v_fma_f64 v[72:73], v[72:73], s[12:13], v[80:81]
	v_add_f64 v[40:41], v[1:2], v[40:41]
	v_add_f64 v[42:43], v[3:4], v[42:43]
	v_and_b32_e32 v1, 0xff, v0
	s_delay_alu instid0(VALU_DEP_1)
	v_mul_lo_u16 v16, 0xcd, v1
	v_fma_f64 v[5:6], v[116:117], s[8:9], v[44:45]
	v_fma_f64 v[7:8], v[116:117], s[2:3], v[44:45]
	;; [unrolled: 1-line block ×8, first 2 shown]
	v_add_f64 v[54:55], v[54:55], v[58:59]
	v_fma_f64 v[80:81], v[84:85], s[16:17], v[90:91]
	v_fma_f64 v[90:91], v[88:89], s[16:17], v[92:93]
	;; [unrolled: 1-line block ×7, first 2 shown]
	v_add_f64 v[78:79], v[78:79], v[96:97]
	v_add_f64 v[48:49], v[48:49], v[98:99]
	;; [unrolled: 1-line block ×5, first 2 shown]
	v_fma_f64 v[5:6], v[118:119], s[14:15], v[5:6]
	v_fma_f64 v[7:8], v[118:119], s[12:13], v[7:8]
	;; [unrolled: 1-line block ×9, first 2 shown]
	v_add_f64 v[54:55], v[54:55], v[62:63]
	v_mul_f64 v[66:67], v[80:81], s[18:19]
	v_mul_f64 v[70:71], v[90:91], s[8:9]
	;; [unrolled: 1-line block ×8, first 2 shown]
	v_add_f64 v[52:53], v[52:53], v[60:61]
	v_fma_f64 v[60:61], v[78:79], s[16:17], v[5:6]
	v_fma_f64 v[62:63], v[78:79], s[16:17], v[7:8]
	v_fma_f64 v[12:13], v[48:49], s[16:17], v[12:13]
	v_fma_f64 v[14:15], v[48:49], s[16:17], v[14:15]
	v_fma_f64 v[78:79], v[84:85], s[16:17], v[44:45]
	v_fma_f64 v[96:97], v[50:51], s[16:17], v[56:57]
	v_fma_f64 v[98:99], v[50:51], s[16:17], v[58:59]
	v_fma_f64 v[84:85], v[84:85], s[16:17], v[46:47]
	v_add_f64 v[3:4], v[54:55], v[42:43]
	v_add_f64 v[7:8], v[54:55], -v[42:43]
	v_fma_f64 v[56:57], v[64:65], s[14:15], v[66:67]
	v_fma_f64 v[58:59], v[68:69], s[16:17], v[70:71]
	;; [unrolled: 1-line block ×3, first 2 shown]
	v_fma_f64 v[66:67], v[74:75], s[8:9], -v[72:73]
	v_fma_f64 v[72:73], v[90:91], s[16:17], v[86:87]
	v_fma_f64 v[74:75], v[92:93], s[2:3], -v[88:89]
	v_fma_f64 v[68:69], v[76:77], s[14:15], -v[82:83]
	;; [unrolled: 1-line block ×3, first 2 shown]
	v_add_f64 v[1:2], v[52:53], v[40:41]
	v_add_f64 v[5:6], v[52:53], -v[40:41]
	v_add_f64 v[40:41], v[60:61], v[56:57]
	v_add_f64 v[44:45], v[12:13], v[58:59]
	;; [unrolled: 1-line block ×8, first 2 shown]
	v_add_f64 v[56:57], v[60:61], -v[56:57]
	v_add_f64 v[60:61], v[12:13], -v[58:59]
	;; [unrolled: 1-line block ×8, first 2 shown]
	v_lshrrev_b16 v15, 11, v16
	v_mul_lo_u16 v10, v0, 10
	s_delay_alu instid0(VALU_DEP_2) | instskip(NEXT) | instid1(VALU_DEP_2)
	v_mul_lo_u16 v9, v15, 10
	v_and_b32_e32 v10, 0xffff, v10
	s_delay_alu instid0(VALU_DEP_2) | instskip(NEXT) | instid1(VALU_DEP_2)
	v_sub_nc_u16 v9, v0, v9
	v_lshlrev_b32_e32 v12, 4, v10
	ds_store_b128 v12, v[1:4]
	ds_store_b128 v12, v[40:43] offset:16
	ds_store_b128 v12, v[44:47] offset:32
	ds_store_b128 v12, v[48:51] offset:48
	ds_store_b128 v12, v[52:55] offset:64
	ds_store_b128 v12, v[5:8] offset:80
	ds_store_b128 v12, v[56:59] offset:96
	ds_store_b128 v12, v[60:63] offset:112
	ds_store_b128 v12, v[64:67] offset:128
	ds_store_b128 v12, v[68:71] offset:144
	v_and_b32_e32 v16, 0xff, v9
	s_waitcnt lgkmcnt(0)
	s_barrier
	buffer_gl0_inv
	v_mad_u64_u32 v[9:10], null, 0x90, v16, s[10:11]
	s_clause 0x8
	global_load_b128 v[60:63], v[9:10], off offset:32
	global_load_b128 v[72:75], v[9:10], off offset:64
	;; [unrolled: 1-line block ×4, first 2 shown]
	global_load_b128 v[40:43], v[9:10], off
	global_load_b128 v[56:59], v[9:10], off offset:16
	global_load_b128 v[52:55], v[9:10], off offset:48
	;; [unrolled: 1-line block ×4, first 2 shown]
	ds_load_b128 v[1:4], v11 offset:6240
	ds_load_b128 v[5:8], v11 offset:10400
	ds_load_b128 v[64:67], v11 offset:14560
	ds_load_b128 v[80:83], v11 offset:18720
	ds_load_b128 v[84:87], v11 offset:2080
	ds_load_b128 v[88:91], v11 offset:4160
	s_waitcnt vmcnt(8) lgkmcnt(5)
	v_mul_f64 v[9:10], v[3:4], v[62:63]
	v_mul_f64 v[13:14], v[1:2], v[62:63]
	s_waitcnt vmcnt(7) lgkmcnt(4)
	v_mul_f64 v[92:93], v[7:8], v[74:75]
	v_mul_f64 v[94:95], v[5:6], v[74:75]
	s_waitcnt vmcnt(6) lgkmcnt(3)
	v_mul_f64 v[96:97], v[64:65], v[70:71]
	s_waitcnt vmcnt(5) lgkmcnt(2)
	v_mul_f64 v[98:99], v[80:81], v[78:79]
	v_mul_f64 v[100:101], v[82:83], v[78:79]
	;; [unrolled: 1-line block ×3, first 2 shown]
	s_waitcnt vmcnt(4) lgkmcnt(1)
	v_mul_f64 v[104:105], v[86:87], v[42:43]
	v_mul_f64 v[106:107], v[84:85], v[42:43]
	v_fma_f64 v[9:10], v[1:2], v[60:61], -v[9:10]
	v_fma_f64 v[13:14], v[3:4], v[60:61], v[13:14]
	v_fma_f64 v[92:93], v[5:6], v[72:73], -v[92:93]
	v_fma_f64 v[94:95], v[7:8], v[72:73], v[94:95]
	v_fma_f64 v[96:97], v[66:67], v[68:69], v[96:97]
	;; [unrolled: 1-line block ×3, first 2 shown]
	v_fma_f64 v[80:81], v[80:81], v[76:77], -v[100:101]
	v_fma_f64 v[98:99], v[64:65], v[68:69], -v[102:103]
	ds_load_b128 v[1:4], v11 offset:8320
	ds_load_b128 v[5:8], v11 offset:12480
	;; [unrolled: 1-line block ×3, first 2 shown]
	s_waitcnt vmcnt(3) lgkmcnt(3)
	v_mul_f64 v[100:101], v[90:91], v[58:59]
	v_mul_f64 v[102:103], v[88:89], v[58:59]
	v_fma_f64 v[84:85], v[84:85], v[40:41], -v[104:105]
	v_fma_f64 v[86:87], v[86:87], v[40:41], v[106:107]
	s_waitcnt vmcnt(2) lgkmcnt(2)
	v_mul_f64 v[108:109], v[3:4], v[54:55]
	v_mul_f64 v[110:111], v[1:2], v[54:55]
	s_waitcnt vmcnt(1) lgkmcnt(1)
	v_mul_f64 v[112:113], v[7:8], v[50:51]
	s_waitcnt vmcnt(0) lgkmcnt(0)
	v_mul_f64 v[114:115], v[66:67], v[46:47]
	v_mul_f64 v[116:117], v[5:6], v[50:51]
	;; [unrolled: 1-line block ×3, first 2 shown]
	v_add_f64 v[128:129], v[9:10], -v[92:93]
	v_add_f64 v[132:133], v[92:93], -v[9:10]
	v_add_f64 v[104:105], v[94:95], v[96:97]
	v_add_f64 v[106:107], v[13:14], v[82:83]
	;; [unrolled: 1-line block ×4, first 2 shown]
	v_add_f64 v[130:131], v[80:81], -v[98:99]
	v_fma_f64 v[88:89], v[88:89], v[56:57], -v[100:101]
	v_fma_f64 v[90:91], v[90:91], v[56:57], v[102:103]
	v_add_f64 v[134:135], v[98:99], -v[80:81]
	v_add_f64 v[136:137], v[13:14], -v[94:95]
	;; [unrolled: 1-line block ×5, first 2 shown]
	v_fma_f64 v[100:101], v[1:2], v[52:53], -v[108:109]
	v_fma_f64 v[102:103], v[3:4], v[52:53], v[110:111]
	v_fma_f64 v[5:6], v[5:6], v[48:49], -v[112:113]
	v_fma_f64 v[64:65], v[64:65], v[44:45], -v[114:115]
	v_fma_f64 v[7:8], v[7:8], v[48:49], v[116:117]
	v_fma_f64 v[66:67], v[66:67], v[44:45], v[118:119]
	v_add_f64 v[108:109], v[13:14], -v[82:83]
	v_add_f64 v[110:111], v[94:95], -v[96:97]
	;; [unrolled: 1-line block ×4, first 2 shown]
	ds_load_b128 v[1:4], v11
	v_add_f64 v[9:10], v[84:85], v[9:10]
	v_add_f64 v[13:14], v[86:87], v[13:14]
	s_waitcnt lgkmcnt(0)
	s_barrier
	buffer_gl0_inv
	v_fma_f64 v[104:105], v[104:105], -0.5, v[86:87]
	v_fma_f64 v[106:107], v[106:107], -0.5, v[86:87]
	;; [unrolled: 1-line block ×4, first 2 shown]
	v_add_f64 v[152:153], v[1:2], v[88:89]
	v_add_f64 v[158:159], v[3:4], v[90:91]
	v_add_f64 v[120:121], v[100:101], v[5:6]
	v_add_f64 v[122:123], v[88:89], v[64:65]
	v_add_f64 v[124:125], v[102:103], v[7:8]
	v_add_f64 v[126:127], v[90:91], v[66:67]
	v_add_f64 v[154:155], v[90:91], -v[66:67]
	v_add_f64 v[156:157], v[102:103], -v[7:8]
	;; [unrolled: 1-line block ×4, first 2 shown]
	v_add_f64 v[9:10], v[9:10], v[92:93]
	v_add_f64 v[13:14], v[13:14], v[94:95]
	v_fma_f64 v[144:145], v[112:113], s[2:3], v[104:105]
	v_fma_f64 v[146:147], v[114:115], s[8:9], v[106:107]
	;; [unrolled: 1-line block ×8, first 2 shown]
	v_fma_f64 v[84:85], v[120:121], -0.5, v[1:2]
	v_fma_f64 v[1:2], v[122:123], -0.5, v[1:2]
	;; [unrolled: 1-line block ×4, first 2 shown]
	v_add_f64 v[120:121], v[128:129], v[130:131]
	v_add_f64 v[122:123], v[132:133], v[134:135]
	;; [unrolled: 1-line block ×4, first 2 shown]
	v_add_f64 v[136:137], v[66:67], -v[7:8]
	v_add_f64 v[138:139], v[7:8], -v[66:67]
	v_add_f64 v[9:10], v[9:10], v[98:99]
	v_add_f64 v[13:14], v[13:14], v[96:97]
	v_fma_f64 v[128:129], v[114:115], s[12:13], v[144:145]
	v_fma_f64 v[130:131], v[112:113], s[12:13], v[146:147]
	;; [unrolled: 1-line block ×8, first 2 shown]
	v_add_f64 v[112:113], v[88:89], -v[100:101]
	v_add_f64 v[114:115], v[64:65], -v[5:6]
	;; [unrolled: 1-line block ×6, first 2 shown]
	v_add_f64 v[100:101], v[152:153], v[100:101]
	v_add_f64 v[102:103], v[158:159], v[102:103]
	v_fma_f64 v[92:93], v[154:155], s[8:9], v[84:85]
	v_fma_f64 v[84:85], v[154:155], s[2:3], v[84:85]
	;; [unrolled: 1-line block ×8, first 2 shown]
	v_add_f64 v[9:10], v[9:10], v[80:81]
	v_add_f64 v[13:14], v[13:14], v[82:83]
	v_fma_f64 v[128:129], v[124:125], s[16:17], v[128:129]
	v_fma_f64 v[130:131], v[126:127], s[16:17], v[130:131]
	;; [unrolled: 1-line block ×8, first 2 shown]
	v_add_f64 v[112:113], v[112:113], v[114:115]
	v_add_f64 v[88:89], v[88:89], v[116:117]
	;; [unrolled: 1-line block ×6, first 2 shown]
	v_fma_f64 v[92:93], v[156:157], s[14:15], v[92:93]
	v_fma_f64 v[84:85], v[156:157], s[12:13], v[84:85]
	;; [unrolled: 1-line block ×8, first 2 shown]
	v_mul_f64 v[100:101], v[128:129], s[14:15]
	v_mul_f64 v[102:103], v[130:131], s[8:9]
	;; [unrolled: 1-line block ×8, first 2 shown]
	v_add_f64 v[5:6], v[5:6], v[64:65]
	v_add_f64 v[7:8], v[7:8], v[66:67]
	v_fma_f64 v[64:65], v[112:113], s[16:17], v[92:93]
	v_fma_f64 v[66:67], v[112:113], s[16:17], v[84:85]
	;; [unrolled: 1-line block ×10, first 2 shown]
	v_fma_f64 v[102:103], v[106:107], s[8:9], -v[116:117]
	v_fma_f64 v[104:105], v[104:105], s[14:15], -v[118:119]
	v_fma_f64 v[106:107], v[128:129], s[18:19], v[120:121]
	v_fma_f64 v[118:119], v[130:131], s[16:17], v[122:123]
	v_fma_f64 v[120:121], v[132:133], s[2:3], -v[124:125]
	v_fma_f64 v[122:123], v[134:135], s[12:13], -v[126:127]
	s_load_b64 s[2:3], s[0:1], 0x38
	v_add_f64 v[136:137], v[5:6], v[9:10]
	v_add_f64 v[138:139], v[7:8], v[13:14]
	v_add_f64 v[112:113], v[5:6], -v[9:10]
	v_add_f64 v[114:115], v[7:8], -v[13:14]
	v_add_f64 v[80:81], v[64:65], v[90:91]
	v_add_f64 v[92:93], v[84:85], v[100:101]
	;; [unrolled: 1-line block ×8, first 2 shown]
	v_add_f64 v[124:125], v[64:65], -v[90:91]
	v_add_f64 v[128:129], v[84:85], -v[100:101]
	;; [unrolled: 1-line block ×8, first 2 shown]
	v_and_b32_e32 v1, 0xffff, v15
                                        ; implicit-def: $vgpr120_vgpr121
                                        ; implicit-def: $vgpr100_vgpr101
                                        ; implicit-def: $vgpr104_vgpr105
	s_delay_alu instid0(VALU_DEP_1) | instskip(NEXT) | instid1(VALU_DEP_1)
	v_mul_u32_u24_e32 v1, 0x64, v1
	v_add_lshl_u32 v10, v1, v16, 4
	ds_store_b128 v10, v[136:139]
	ds_store_b128 v10, v[80:83] offset:160
	ds_store_b128 v10, v[92:95] offset:320
	;; [unrolled: 1-line block ×9, first 2 shown]
	s_waitcnt lgkmcnt(0)
	s_barrier
	buffer_gl0_inv
	s_and_saveexec_b32 s0, vcc_lo
	s_cbranch_execz .LBB0_3
; %bb.2:
	ds_load_b128 v[136:139], v11
	ds_load_b128 v[80:83], v11 offset:1600
	ds_load_b128 v[92:95], v11 offset:3200
	;; [unrolled: 1-line block ×12, first 2 shown]
.LBB0_3:
	s_or_b32 exec_lo, exec_lo, s0
	v_add_nc_u32_e32 v0, 0xffffff9c, v17
	scratch_store_b32 off, v17, off offset:8 ; 4-byte Folded Spill
	s_mov_b32 s12, 0x4267c47c
	s_mov_b32 s13, 0xbfddbe06
	;; [unrolled: 1-line block ×3, first 2 shown]
	v_cndmask_b32_e32 v0, v0, v17, vcc_lo
	s_mov_b32 s9, 0x3fec55a7
	s_mov_b32 s20, 0x66966769
	;; [unrolled: 1-line block ×4, first 2 shown]
	v_mul_i32_i24_e32 v1, 0xc0, v0
	v_mul_hi_i32_i24_e32 v2, 0xc0, v0
	s_mov_b32 s15, 0x3fbedb7d
	s_mov_b32 s24, 0x2ef20147
	;; [unrolled: 1-line block ×3, first 2 shown]
	v_add_co_u32 v0, s0, s10, v1
	s_delay_alu instid0(VALU_DEP_1)
	v_add_co_ci_u32_e64 v1, s0, s11, v2, s0
	s_mov_b32 s10, 0x42a4c3d2
	s_mov_b32 s11, 0xbfea55e2
	;; [unrolled: 1-line block ×3, first 2 shown]
	s_clause 0x1
	global_load_b128 v[64:67], v[0:1], off offset:1440
	global_load_b128 v[84:87], v[0:1], off offset:1456
	s_mov_b32 s1, 0x3fe22d96
	s_mov_b32 s16, 0xb2365da1
	;; [unrolled: 1-line block ×19, first 2 shown]
	s_waitcnt vmcnt(1) lgkmcnt(11)
	v_mul_f64 v[2:3], v[82:83], v[66:67]
	s_delay_alu instid0(VALU_DEP_1) | instskip(SKIP_1) | instid1(VALU_DEP_1)
	v_fma_f64 v[241:242], v[80:81], v[64:65], -v[2:3]
	v_mul_f64 v[2:3], v[80:81], v[66:67]
	v_fma_f64 v[243:244], v[82:83], v[64:65], v[2:3]
	s_clause 0x1
	global_load_b128 v[80:83], v[0:1], off offset:1616
	global_load_b128 v[88:91], v[0:1], off offset:1600
	s_waitcnt vmcnt(1) lgkmcnt(0)
	v_mul_f64 v[2:3], v[104:105], v[82:83]
	s_delay_alu instid0(VALU_DEP_1) | instskip(SKIP_1) | instid1(VALU_DEP_1)
	v_fma_f64 v[15:16], v[106:107], v[80:81], v[2:3]
	v_mul_f64 v[2:3], v[106:107], v[82:83]
	v_fma_f64 v[17:18], v[104:105], v[80:81], -v[2:3]
	v_mul_f64 v[2:3], v[94:95], v[86:87]
	s_delay_alu instid0(VALU_DEP_2) | instskip(NEXT) | instid1(VALU_DEP_2)
	v_add_f64 v[154:155], v[241:242], v[17:18]
	v_fma_f64 v[23:24], v[92:93], v[84:85], -v[2:3]
	v_mul_f64 v[2:3], v[92:93], v[86:87]
	v_add_f64 v[156:157], v[241:242], -v[17:18]
	s_delay_alu instid0(VALU_DEP_2) | instskip(SKIP_2) | instid1(VALU_DEP_3)
	v_fma_f64 v[25:26], v[94:95], v[84:85], v[2:3]
	s_waitcnt vmcnt(0)
	v_mul_f64 v[2:3], v[100:101], v[90:91]
	v_mul_f64 v[160:161], v[156:157], s[10:11]
	s_delay_alu instid0(VALU_DEP_2) | instskip(SKIP_1) | instid1(VALU_DEP_2)
	v_fma_f64 v[19:20], v[102:103], v[88:89], v[2:3]
	v_mul_f64 v[2:3], v[102:103], v[90:91]
	v_add_f64 v[197:198], v[25:26], -v[19:20]
	s_delay_alu instid0(VALU_DEP_2)
	v_fma_f64 v[21:22], v[100:101], v[88:89], -v[2:3]
	s_clause 0x1
	global_load_b128 v[92:95], v[0:1], off offset:1472
	global_load_b128 v[100:103], v[0:1], off offset:1488
	v_add_f64 v[189:190], v[25:26], v[19:20]
	v_mul_f64 v[249:250], v[197:198], s[10:11]
	v_add_f64 v[185:186], v[23:24], v[21:22]
	v_add_f64 v[199:200], v[23:24], -v[21:22]
	s_delay_alu instid0(VALU_DEP_2) | instskip(NEXT) | instid1(VALU_DEP_2)
	v_fma_f64 v[6:7], v[185:186], s[0:1], v[249:250]
	v_mul_f64 v[203:204], v[199:200], s[10:11]
	v_mul_f64 v[187:188], v[199:200], s[24:25]
	s_waitcnt vmcnt(1)
	v_mul_f64 v[2:3], v[98:99], v[94:95]
	s_delay_alu instid0(VALU_DEP_1) | instskip(SKIP_1) | instid1(VALU_DEP_1)
	v_fma_f64 v[27:28], v[96:97], v[92:93], -v[2:3]
	v_mul_f64 v[2:3], v[96:97], v[94:95]
	v_fma_f64 v[29:30], v[98:99], v[92:93], v[2:3]
	s_clause 0x1
	global_load_b128 v[96:99], v[0:1], off offset:1584
	global_load_b128 v[104:107], v[0:1], off offset:1568
	s_waitcnt vmcnt(1)
	v_mul_f64 v[2:3], v[122:123], v[98:99]
	s_delay_alu instid0(VALU_DEP_1) | instskip(SKIP_1) | instid1(VALU_DEP_2)
	v_fma_f64 v[31:32], v[120:121], v[96:97], -v[2:3]
	v_mul_f64 v[2:3], v[120:121], v[98:99]
	v_add_f64 v[193:194], v[27:28], v[31:32]
	s_delay_alu instid0(VALU_DEP_2) | instskip(SKIP_2) | instid1(VALU_DEP_3)
	v_fma_f64 v[33:34], v[122:123], v[96:97], v[2:3]
	v_mul_f64 v[2:3], v[110:111], v[102:103]
	v_add_f64 v[217:218], v[27:28], -v[31:32]
	v_add_f64 v[219:220], v[29:30], -v[33:34]
	s_delay_alu instid0(VALU_DEP_3)
	v_fma_f64 v[165:166], v[108:109], v[100:101], -v[2:3]
	v_mul_f64 v[2:3], v[108:109], v[102:103]
	v_add_f64 v[205:206], v[29:30], v[33:34]
	v_mul_f64 v[223:224], v[217:218], s[20:21]
	v_mul_f64 v[140:141], v[217:218], s[28:29]
	;; [unrolled: 1-line block ×5, first 2 shown]
	v_fma_f64 v[167:168], v[110:111], v[100:101], v[2:3]
	s_waitcnt vmcnt(0)
	v_mul_f64 v[2:3], v[118:119], v[106:107]
	s_delay_alu instid0(VALU_DEP_1) | instskip(SKIP_1) | instid1(VALU_DEP_2)
	v_fma_f64 v[37:38], v[116:117], v[104:105], -v[2:3]
	v_mul_f64 v[2:3], v[116:117], v[106:107]
	v_add_f64 v[201:202], v[165:166], v[37:38]
	s_delay_alu instid0(VALU_DEP_2)
	v_fma_f64 v[35:36], v[118:119], v[104:105], v[2:3]
	s_clause 0x1
	global_load_b128 v[108:111], v[0:1], off offset:1504
	global_load_b128 v[116:119], v[0:1], off offset:1520
	v_add_f64 v[233:234], v[165:166], -v[37:38]
	v_add_f64 v[237:238], v[167:168], -v[35:36]
	v_add_f64 v[209:210], v[167:168], v[35:36]
	s_delay_alu instid0(VALU_DEP_3)
	v_mul_f64 v[227:228], v[233:234], s[24:25]
	v_mul_f64 v[207:208], v[233:234], s[30:31]
	;; [unrolled: 1-line block ×6, first 2 shown]
	s_waitcnt vmcnt(1)
	v_mul_f64 v[2:3], v[114:115], v[110:111]
	s_delay_alu instid0(VALU_DEP_1) | instskip(SKIP_1) | instid1(VALU_DEP_1)
	v_fma_f64 v[169:170], v[112:113], v[108:109], -v[2:3]
	v_mul_f64 v[2:3], v[112:113], v[110:111]
	v_fma_f64 v[171:172], v[114:115], v[108:109], v[2:3]
	s_clause 0x1
	global_load_b128 v[112:115], v[0:1], off offset:1552
	global_load_b128 v[120:123], v[0:1], off offset:1536
	v_add_f64 v[2:3], v[243:244], -v[15:16]
	s_delay_alu instid0(VALU_DEP_1) | instskip(SKIP_3) | instid1(VALU_DEP_1)
	v_mul_f64 v[158:159], v[2:3], s[10:11]
	v_mul_f64 v[162:163], v[2:3], s[20:21]
	s_waitcnt vmcnt(1)
	v_mul_f64 v[0:1], v[134:135], v[114:115]
	v_fma_f64 v[173:174], v[132:133], v[112:113], -v[0:1]
	v_mul_f64 v[0:1], v[132:133], v[114:115]
	s_delay_alu instid0(VALU_DEP_2) | instskip(NEXT) | instid1(VALU_DEP_2)
	v_add_f64 v[213:214], v[169:170], v[173:174]
	v_fma_f64 v[175:176], v[134:135], v[112:113], v[0:1]
	v_mul_f64 v[0:1], v[126:127], v[118:119]
	v_add_f64 v[235:236], v[169:170], -v[173:174]
	v_mul_f64 v[134:135], v[199:200], s[28:29]
	s_delay_alu instid0(VALU_DEP_4) | instskip(NEXT) | instid1(VALU_DEP_4)
	v_add_f64 v[245:246], v[171:172], -v[175:176]
	v_fma_f64 v[177:178], v[124:125], v[116:117], -v[0:1]
	v_mul_f64 v[0:1], v[124:125], v[118:119]
	v_fma_f64 v[124:125], v[189:190], s[0:1], -v[203:204]
	v_add_f64 v[225:226], v[171:172], v[175:176]
	v_mul_f64 v[253:254], v[235:236], s[26:27]
	v_mul_f64 v[152:153], v[235:236], s[10:11]
	scratch_store_b64 off, v[134:135], off offset:220 ; 8-byte Folded Spill
	v_fma_f64 v[134:135], v[189:190], s[22:23], -v[134:135]
	v_mul_f64 v[231:232], v[245:246], s[26:27]
	v_fma_f64 v[181:182], v[126:127], v[116:117], v[0:1]
	s_waitcnt vmcnt(0)
	v_mul_f64 v[0:1], v[130:131], v[122:123]
	s_delay_alu instid0(VALU_DEP_1) | instskip(SKIP_2) | instid1(VALU_DEP_3)
	v_fma_f64 v[179:180], v[128:129], v[120:121], -v[0:1]
	v_mul_f64 v[0:1], v[128:129], v[122:123]
	v_fma_f64 v[128:129], v[189:190], s[16:17], -v[187:188]
	v_add_f64 v[221:222], v[177:178], v[179:180]
	s_delay_alu instid0(VALU_DEP_3) | instskip(SKIP_2) | instid1(VALU_DEP_3)
	v_fma_f64 v[183:184], v[130:131], v[120:121], v[0:1]
	v_mul_f64 v[0:1], v[2:3], s[12:13]
	v_add_f64 v[239:240], v[177:178], -v[179:180]
	v_add_f64 v[247:248], v[181:182], -v[183:184]
	s_delay_alu instid0(VALU_DEP_3) | instskip(SKIP_1) | instid1(VALU_DEP_4)
	v_fma_f64 v[4:5], v[154:155], s[8:9], v[0:1]
	v_add_f64 v[229:230], v[181:182], v[183:184]
	v_mul_f64 v[195:196], v[239:240], s[36:37]
	v_mul_f64 v[150:151], v[239:240], s[26:27]
	v_mul_f64 v[251:252], v[247:248], s[28:29]
	v_add_f64 v[4:5], v[136:137], v[4:5]
	s_delay_alu instid0(VALU_DEP_1) | instskip(SKIP_2) | instid1(VALU_DEP_1)
	v_add_f64 v[8:9], v[6:7], v[4:5]
	v_add_f64 v[4:5], v[243:244], v[15:16]
	v_mul_f64 v[6:7], v[156:157], s[12:13]
	v_fma_f64 v[13:14], v[4:5], s[8:9], -v[6:7]
	s_delay_alu instid0(VALU_DEP_1) | instskip(NEXT) | instid1(VALU_DEP_1)
	v_add_f64 v[13:14], v[138:139], v[13:14]
	v_add_f64 v[13:14], v[124:125], v[13:14]
	v_fma_f64 v[124:125], v[193:194], s[14:15], v[211:212]
	s_delay_alu instid0(VALU_DEP_1) | instskip(SKIP_1) | instid1(VALU_DEP_1)
	v_add_f64 v[8:9], v[124:125], v[8:9]
	v_fma_f64 v[124:125], v[205:206], s[14:15], -v[223:224]
	v_add_f64 v[13:14], v[124:125], v[13:14]
	v_fma_f64 v[124:125], v[201:202], s[16:17], v[215:216]
	s_delay_alu instid0(VALU_DEP_1) | instskip(SKIP_1) | instid1(VALU_DEP_1)
	v_add_f64 v[8:9], v[124:125], v[8:9]
	v_fma_f64 v[124:125], v[209:210], s[16:17], -v[227:228]
	;; [unrolled: 5-line block ×3, first 2 shown]
	v_add_f64 v[13:14], v[124:125], v[13:14]
	v_fma_f64 v[124:125], v[221:222], s[22:23], v[251:252]
	s_delay_alu instid0(VALU_DEP_1) | instskip(SKIP_3) | instid1(VALU_DEP_1)
	v_add_f64 v[124:125], v[124:125], v[8:9]
	v_mul_f64 v[8:9], v[239:240], s[28:29]
	scratch_store_b64 off, v[8:9], off offset:172 ; 8-byte Folded Spill
	v_fma_f64 v[8:9], v[229:230], s[22:23], -v[8:9]
	v_add_f64 v[126:127], v[8:9], v[13:14]
	v_fma_f64 v[8:9], v[154:155], s[0:1], v[158:159]
	v_mul_f64 v[13:14], v[197:198], s[24:25]
	s_delay_alu instid0(VALU_DEP_2) | instskip(SKIP_2) | instid1(VALU_DEP_1)
	v_add_f64 v[8:9], v[136:137], v[8:9]
	scratch_store_b64 off, v[13:14], off offset:180 ; 8-byte Folded Spill
	v_fma_f64 v[13:14], v[185:186], s[16:17], v[13:14]
	v_add_f64 v[8:9], v[13:14], v[8:9]
	v_fma_f64 v[13:14], v[4:5], s[0:1], -v[160:161]
	s_delay_alu instid0(VALU_DEP_1) | instskip(NEXT) | instid1(VALU_DEP_1)
	v_add_f64 v[13:14], v[138:139], v[13:14]
	v_add_f64 v[13:14], v[128:129], v[13:14]
	v_mul_f64 v[128:129], v[219:220], s[28:29]
	scratch_store_b64 off, v[128:129], off offset:196 ; 8-byte Folded Spill
	v_fma_f64 v[128:129], v[193:194], s[22:23], v[128:129]
	s_delay_alu instid0(VALU_DEP_1) | instskip(SKIP_1) | instid1(VALU_DEP_1)
	v_add_f64 v[8:9], v[128:129], v[8:9]
	v_fma_f64 v[128:129], v[205:206], s[22:23], -v[140:141]
	v_add_f64 v[13:14], v[128:129], v[13:14]
	v_fma_f64 v[128:129], v[201:202], s[18:19], v[191:192]
	s_delay_alu instid0(VALU_DEP_1) | instskip(SKIP_1) | instid1(VALU_DEP_1)
	v_add_f64 v[8:9], v[128:129], v[8:9]
	v_fma_f64 v[128:129], v[209:210], s[18:19], -v[207:208]
	v_add_f64 v[13:14], v[128:129], v[13:14]
	v_mul_f64 v[128:129], v[245:246], s[34:35]
	scratch_store_b64 off, v[128:129], off offset:204 ; 8-byte Folded Spill
	v_fma_f64 v[128:129], v[213:214], s[14:15], v[128:129]
	s_delay_alu instid0(VALU_DEP_1) | instskip(SKIP_3) | instid1(VALU_DEP_1)
	v_add_f64 v[8:9], v[128:129], v[8:9]
	v_mul_f64 v[128:129], v[235:236], s[34:35]
	scratch_store_b64 off, v[128:129], off offset:236 ; 8-byte Folded Spill
	v_fma_f64 v[128:129], v[225:226], s[14:15], -v[128:129]
	v_add_f64 v[13:14], v[128:129], v[13:14]
	v_mul_f64 v[128:129], v[247:248], s[36:37]
	scratch_store_b64 off, v[128:129], off offset:212 ; 8-byte Folded Spill
	v_fma_f64 v[128:129], v[221:222], s[8:9], v[128:129]
	s_delay_alu instid0(VALU_DEP_1) | instskip(SKIP_1) | instid1(VALU_DEP_1)
	v_add_f64 v[128:129], v[128:129], v[8:9]
	v_fma_f64 v[8:9], v[229:230], s[8:9], -v[195:196]
	v_add_f64 v[130:131], v[8:9], v[13:14]
	v_fma_f64 v[8:9], v[154:155], s[14:15], v[162:163]
	v_mul_f64 v[13:14], v[197:198], s[28:29]
	s_delay_alu instid0(VALU_DEP_2) | instskip(SKIP_2) | instid1(VALU_DEP_1)
	v_add_f64 v[8:9], v[136:137], v[8:9]
	scratch_store_b64 off, v[13:14], off offset:188 ; 8-byte Folded Spill
	v_fma_f64 v[13:14], v[185:186], s[22:23], v[13:14]
	v_add_f64 v[13:14], v[13:14], v[8:9]
	v_mul_f64 v[8:9], v[156:157], s[20:21]
	s_delay_alu instid0(VALU_DEP_1) | instskip(NEXT) | instid1(VALU_DEP_1)
	v_fma_f64 v[132:133], v[4:5], s[14:15], -v[8:9]
	v_add_f64 v[132:133], v[138:139], v[132:133]
	s_delay_alu instid0(VALU_DEP_1) | instskip(SKIP_1) | instid1(VALU_DEP_1)
	v_add_f64 v[132:133], v[134:135], v[132:133]
	v_fma_f64 v[134:135], v[193:194], s[16:17], v[144:145]
	v_add_f64 v[13:14], v[134:135], v[13:14]
	v_fma_f64 v[134:135], v[205:206], s[16:17], -v[142:143]
	s_delay_alu instid0(VALU_DEP_1) | instskip(SKIP_1) | instid1(VALU_DEP_1)
	v_add_f64 v[132:133], v[134:135], v[132:133]
	v_fma_f64 v[134:135], v[201:202], s[8:9], v[146:147]
	v_add_f64 v[13:14], v[134:135], v[13:14]
	v_fma_f64 v[134:135], v[209:210], s[8:9], -v[148:149]
	s_delay_alu instid0(VALU_DEP_1) | instskip(SKIP_3) | instid1(VALU_DEP_1)
	v_add_f64 v[132:133], v[134:135], v[132:133]
	v_mul_f64 v[134:135], v[245:246], s[10:11]
	scratch_store_b64 off, v[134:135], off offset:244 ; 8-byte Folded Spill
	v_fma_f64 v[134:135], v[213:214], s[0:1], v[134:135]
	v_add_f64 v[13:14], v[134:135], v[13:14]
	v_fma_f64 v[134:135], v[225:226], s[0:1], -v[152:153]
	s_delay_alu instid0(VALU_DEP_1) | instskip(SKIP_3) | instid1(VALU_DEP_1)
	v_add_f64 v[134:135], v[134:135], v[132:133]
	v_mul_f64 v[132:133], v[247:248], s[26:27]
	scratch_store_b64 off, v[132:133], off offset:228 ; 8-byte Folded Spill
	v_fma_f64 v[132:133], v[221:222], s[18:19], v[132:133]
	v_add_f64 v[132:133], v[132:133], v[13:14]
	v_fma_f64 v[13:14], v[229:230], s[18:19], -v[150:151]
	s_delay_alu instid0(VALU_DEP_1)
	v_add_f64 v[134:135], v[13:14], v[134:135]
	s_and_saveexec_b32 s33, vcc_lo
	s_cbranch_execz .LBB0_5
; %bb.4:
	v_mul_f64 v[13:14], v[4:5], s[22:23]
	s_clause 0x3
	scratch_store_b64 off, v[15:16], off offset:252
	scratch_store_b64 off, v[17:18], off offset:260
	;; [unrolled: 1-line block ×4, first 2 shown]
	v_mul_f64 v[17:18], v[4:5], s[18:19]
	v_mul_f64 v[21:22], v[4:5], s[16:17]
	s_mov_b32 s41, 0x3fcea1e5
	s_mov_b32 s40, s28
	s_clause 0x3
	scratch_store_b64 off, v[23:24], off offset:284
	scratch_store_b64 off, v[25:26], off offset:292
	;; [unrolled: 1-line block ×4, first 2 shown]
	v_mul_f64 v[25:26], v[4:5], s[14:15]
	s_mov_b32 s43, 0x3fea55e2
	s_mov_b32 s42, s10
	v_fma_f64 v[15:16], v[156:157], s[40:41], v[13:14]
	v_fma_f64 v[13:14], v[156:157], s[28:29], v[13:14]
	;; [unrolled: 1-line block ×6, first 2 shown]
	v_mul_f64 v[156:157], v[4:5], s[0:1]
	v_mul_f64 v[4:5], v[4:5], s[8:9]
	v_add_f64 v[8:9], v[8:9], v[25:26]
	v_mul_f64 v[25:26], v[154:155], s[14:15]
	v_add_f64 v[15:16], v[138:139], v[15:16]
	v_add_f64 v[13:14], v[138:139], v[13:14]
	;; [unrolled: 1-line block ×6, first 2 shown]
	v_mul_f64 v[160:161], v[154:155], s[0:1]
	v_add_f64 v[4:5], v[6:7], v[4:5]
	v_mul_f64 v[6:7], v[2:3], s[28:29]
	v_add_f64 v[8:9], v[138:139], v[8:9]
	v_add_f64 v[25:26], v[25:26], -v[162:163]
	scratch_store_b64 off, v[17:18], off offset:372 ; 8-byte Folded Spill
	v_add_f64 v[156:157], v[138:139], v[156:157]
	v_add_f64 v[158:159], v[160:161], -v[158:159]
	v_mul_f64 v[160:161], v[2:3], s[26:27]
	v_mul_f64 v[2:3], v[2:3], s[24:25]
	v_fma_f64 v[162:163], v[154:155], s[22:23], v[6:7]
	v_fma_f64 v[6:7], v[154:155], s[22:23], -v[6:7]
	v_add_f64 v[25:26], v[136:137], v[25:26]
	v_add_f64 v[158:159], v[136:137], v[158:159]
	v_fma_f64 v[27:28], v[154:155], s[18:19], v[160:161]
	v_fma_f64 v[29:30], v[154:155], s[18:19], -v[160:161]
	v_fma_f64 v[160:161], v[154:155], s[16:17], v[2:3]
	v_fma_f64 v[2:3], v[154:155], s[16:17], -v[2:3]
	v_mul_f64 v[154:155], v[154:155], s[8:9]
	v_add_f64 v[6:7], v[136:137], v[6:7]
	v_add_f64 v[27:28], v[136:137], v[27:28]
	;; [unrolled: 1-line block ×3, first 2 shown]
	v_dual_mov_b32 v29, v33 :: v_dual_mov_b32 v30, v34
	v_add_f64 v[0:1], v[154:155], -v[0:1]
	v_add_f64 v[154:155], v[138:139], v[243:244]
	scratch_store_b64 off, v[17:18], off offset:364 ; 8-byte Folded Spill
	v_add_f64 v[17:18], v[138:139], v[23:24]
	v_add_f64 v[0:1], v[136:137], v[0:1]
	scratch_store_b64 off, v[154:155], off offset:316 ; 8-byte Folded Spill
	v_add_f64 v[154:155], v[136:137], v[241:242]
	scratch_store_b64 off, v[17:18], off offset:356 ; 8-byte Folded Spill
	v_add_f64 v[17:18], v[136:137], v[160:161]
	s_clause 0x1
	scratch_store_b64 off, v[0:1], off offset:340
	scratch_store_b64 off, v[154:155], off offset:324
	v_add_f64 v[154:155], v[136:137], v[162:163]
	v_add_f64 v[162:163], v[136:137], v[2:3]
	v_add_f64 v[2:3], v[138:139], v[4:5]
	v_mul_f64 v[4:5], v[189:190], s[8:9]
	v_mul_f64 v[136:137], v[205:206], s[18:19]
	s_clause 0x1
	scratch_store_b64 off, v[17:18], off offset:348
	scratch_store_b64 off, v[2:3], off offset:332
	v_fma_f64 v[0:1], v[199:200], s[12:13], v[4:5]
	v_fma_f64 v[138:139], v[217:218], s[30:31], v[136:137]
	;; [unrolled: 1-line block ×3, first 2 shown]
	s_clause 0x2
	scratch_store_b64 off, v[183:184], off offset:380
	scratch_store_b64 off, v[177:178], off offset:388
	;; [unrolled: 1-line block ×3, first 2 shown]
	v_dual_mov_b32 v184, v166 :: v_dual_mov_b32 v183, v165
	v_mul_f64 v[165:166], v[229:230], s[14:15]
	v_dual_mov_b32 v178, v174 :: v_dual_mov_b32 v177, v173
	v_dual_mov_b32 v174, v168 :: v_dual_mov_b32 v173, v167
	v_mul_f64 v[167:168], v[247:248], s[34:35]
	v_dual_mov_b32 v172, v32 :: v_dual_mov_b32 v171, v31
	v_mul_f64 v[31:32], v[229:230], s[16:17]
	scratch_load_b64 v[17:18], off, off offset:236 ; 8-byte Folded Reload
	v_add_f64 v[0:1], v[0:1], v[15:16]
	v_mul_f64 v[15:16], v[197:198], s[36:37]
	v_add_f64 v[4:5], v[4:5], v[13:14]
	v_fma_f64 v[33:34], v[239:240], s[38:39], v[31:32]
	s_delay_alu instid0(VALU_DEP_4) | instskip(NEXT) | instid1(VALU_DEP_4)
	v_add_f64 v[0:1], v[138:139], v[0:1]
	v_fma_f64 v[2:3], v[185:186], s[8:9], v[15:16]
	v_mul_f64 v[138:139], v[219:220], s[26:27]
	v_fma_f64 v[13:14], v[185:186], s[8:9], -v[15:16]
	v_fma_f64 v[15:16], v[221:222], s[14:15], -v[167:168]
	s_delay_alu instid0(VALU_DEP_4) | instskip(NEXT) | instid1(VALU_DEP_4)
	v_add_f64 v[2:3], v[2:3], v[154:155]
	v_fma_f64 v[154:155], v[193:194], s[18:19], v[138:139]
	s_delay_alu instid0(VALU_DEP_4) | instskip(SKIP_1) | instid1(VALU_DEP_3)
	v_add_f64 v[6:7], v[13:14], v[6:7]
	v_fma_f64 v[13:14], v[217:218], s[26:27], v[136:137]
	v_add_f64 v[2:3], v[154:155], v[2:3]
	v_mul_f64 v[154:155], v[209:210], s[0:1]
	s_delay_alu instid0(VALU_DEP_3) | instskip(SKIP_1) | instid1(VALU_DEP_3)
	v_add_f64 v[4:5], v[13:14], v[4:5]
	v_fma_f64 v[13:14], v[193:194], s[18:19], -v[138:139]
	v_fma_f64 v[241:242], v[233:234], s[10:11], v[154:155]
	s_delay_alu instid0(VALU_DEP_2)
	v_add_f64 v[6:7], v[13:14], v[6:7]
	v_fma_f64 v[13:14], v[233:234], s[42:43], v[154:155]
	scratch_load_b64 v[154:155], off, off offset:180 ; 8-byte Folded Reload
	v_add_f64 v[0:1], v[241:242], v[0:1]
	v_mul_f64 v[241:242], v[237:238], s[42:43]
	v_add_f64 v[4:5], v[13:14], v[4:5]
	s_delay_alu instid0(VALU_DEP_2) | instskip(SKIP_2) | instid1(VALU_DEP_3)
	v_fma_f64 v[243:244], v[201:202], s[0:1], v[241:242]
	v_fma_f64 v[13:14], v[201:202], s[0:1], -v[241:242]
	v_mul_f64 v[241:242], v[225:226], s[8:9]
	v_add_f64 v[2:3], v[243:244], v[2:3]
	v_mul_f64 v[243:244], v[225:226], s[16:17]
	s_delay_alu instid0(VALU_DEP_4) | instskip(NEXT) | instid1(VALU_DEP_2)
	v_add_f64 v[6:7], v[13:14], v[6:7]
	v_fma_f64 v[160:161], v[235:236], s[38:39], v[243:244]
	v_fma_f64 v[13:14], v[235:236], s[24:25], v[243:244]
	v_mul_f64 v[243:244], v[245:246], s[36:37]
	s_delay_alu instid0(VALU_DEP_3) | instskip(SKIP_1) | instid1(VALU_DEP_4)
	v_add_f64 v[0:1], v[160:161], v[0:1]
	v_mul_f64 v[160:161], v[245:246], s[24:25]
	v_add_f64 v[4:5], v[13:14], v[4:5]
	s_delay_alu instid0(VALU_DEP_2) | instskip(SKIP_2) | instid1(VALU_DEP_3)
	v_fma_f64 v[13:14], v[213:214], s[16:17], -v[160:161]
	v_fma_f64 v[23:24], v[213:214], s[16:17], v[160:161]
	v_mul_f64 v[160:161], v[219:220], s[10:11]
	v_add_f64 v[13:14], v[13:14], v[6:7]
	v_fma_f64 v[6:7], v[239:240], s[34:35], v[165:166]
	s_delay_alu instid0(VALU_DEP_4) | instskip(SKIP_2) | instid1(VALU_DEP_4)
	v_add_f64 v[23:24], v[23:24], v[2:3]
	v_fma_f64 v[2:3], v[239:240], s[20:21], v[165:166]
	v_mul_f64 v[165:166], v[209:210], s[22:23]
	v_add_f64 v[6:7], v[6:7], v[4:5]
	v_add_f64 v[4:5], v[15:16], v[13:14]
	v_mul_f64 v[13:14], v[189:190], s[14:15]
	v_add_f64 v[2:3], v[2:3], v[0:1]
	v_fma_f64 v[0:1], v[221:222], s[14:15], v[167:168]
	v_mul_f64 v[167:168], v[237:238], s[40:41]
	s_delay_alu instid0(VALU_DEP_4) | instskip(SKIP_1) | instid1(VALU_DEP_4)
	v_fma_f64 v[15:16], v[199:200], s[20:21], v[13:14]
	v_fma_f64 v[13:14], v[199:200], s[34:35], v[13:14]
	v_add_f64 v[0:1], v[0:1], v[23:24]
	s_delay_alu instid0(VALU_DEP_3) | instskip(SKIP_1) | instid1(VALU_DEP_1)
	v_add_f64 v[15:16], v[15:16], v[19:20]
	v_mul_f64 v[19:20], v[197:198], s[34:35]
	v_fma_f64 v[23:24], v[185:186], s[14:15], v[19:20]
	s_delay_alu instid0(VALU_DEP_1) | instskip(SKIP_1) | instid1(VALU_DEP_1)
	v_add_f64 v[23:24], v[23:24], v[27:28]
	v_mul_f64 v[27:28], v[205:206], s[0:1]
	v_fma_f64 v[136:137], v[217:218], s[42:43], v[27:28]
	s_delay_alu instid0(VALU_DEP_1) | instskip(SKIP_1) | instid1(VALU_DEP_1)
	v_add_f64 v[15:16], v[136:137], v[15:16]
	v_fma_f64 v[136:137], v[193:194], s[0:1], v[160:161]
	v_add_f64 v[23:24], v[136:137], v[23:24]
	v_fma_f64 v[136:137], v[233:234], s[28:29], v[165:166]
	s_delay_alu instid0(VALU_DEP_1) | instskip(SKIP_1) | instid1(VALU_DEP_1)
	v_add_f64 v[15:16], v[136:137], v[15:16]
	v_fma_f64 v[136:137], v[201:202], s[22:23], v[167:168]
	v_add_f64 v[23:24], v[136:137], v[23:24]
	v_fma_f64 v[136:137], v[235:236], s[12:13], v[241:242]
	s_delay_alu instid0(VALU_DEP_1) | instskip(SKIP_1) | instid1(VALU_DEP_2)
	v_add_f64 v[15:16], v[136:137], v[15:16]
	v_fma_f64 v[136:137], v[213:214], s[8:9], v[243:244]
	v_add_f64 v[138:139], v[33:34], v[15:16]
	v_mul_f64 v[15:16], v[247:248], s[24:25]
	s_delay_alu instid0(VALU_DEP_3) | instskip(NEXT) | instid1(VALU_DEP_2)
	v_add_f64 v[23:24], v[136:137], v[23:24]
	v_fma_f64 v[33:34], v[221:222], s[16:17], v[15:16]
	v_fma_f64 v[15:16], v[221:222], s[16:17], -v[15:16]
	s_delay_alu instid0(VALU_DEP_2) | instskip(SKIP_2) | instid1(VALU_DEP_2)
	v_add_f64 v[136:137], v[33:34], v[23:24]
	v_mul_f64 v[33:34], v[189:190], s[16:17]
	v_mul_f64 v[23:24], v[205:206], s[22:23]
	v_add_f64 v[33:34], v[187:188], v[33:34]
	scratch_load_b64 v[187:188], off, off offset:196 ; 8-byte Folded Reload
	v_add_f64 v[23:24], v[140:141], v[23:24]
	v_mul_f64 v[140:141], v[185:186], s[16:17]
	v_add_f64 v[33:34], v[33:34], v[156:157]
	v_mul_f64 v[156:157], v[213:214], s[14:15]
	s_waitcnt vmcnt(1)
	s_delay_alu instid0(VALU_DEP_3) | instskip(SKIP_1) | instid1(VALU_DEP_4)
	v_add_f64 v[140:141], v[140:141], -v[154:155]
	v_mul_f64 v[154:155], v[193:194], s[22:23]
	v_add_f64 v[23:24], v[23:24], v[33:34]
	s_delay_alu instid0(VALU_DEP_3) | instskip(SKIP_4) | instid1(VALU_DEP_2)
	v_add_f64 v[140:141], v[140:141], v[158:159]
	scratch_load_b64 v[158:159], off, off offset:204 ; 8-byte Folded Reload
	s_waitcnt vmcnt(1)
	v_add_f64 v[154:155], v[154:155], -v[187:188]
	v_mul_f64 v[187:188], v[209:210], s[18:19]
	v_add_f64 v[33:34], v[154:155], v[140:141]
	s_delay_alu instid0(VALU_DEP_2) | instskip(SKIP_3) | instid1(VALU_DEP_4)
	v_add_f64 v[187:188], v[207:208], v[187:188]
	v_mul_f64 v[207:208], v[201:202], s[18:19]
	v_mul_f64 v[140:141], v[229:230], s[8:9]
	;; [unrolled: 1-line block ×3, first 2 shown]
	v_add_f64 v[23:24], v[187:188], v[23:24]
	s_delay_alu instid0(VALU_DEP_4)
	v_add_f64 v[191:192], v[207:208], -v[191:192]
	v_mul_f64 v[207:208], v[225:226], s[14:15]
	v_add_f64 v[140:141], v[195:196], v[140:141]
	v_mul_f64 v[187:188], v[225:226], s[22:23]
	v_mul_f64 v[195:196], v[247:248], s[42:43]
	v_add_f64 v[33:34], v[191:192], v[33:34]
	v_add_f64 v[207:208], v[17:18], v[207:208]
	scratch_load_b64 v[17:18], off, off offset:244 ; 8-byte Folded Reload
	s_waitcnt vmcnt(1)
	v_add_f64 v[156:157], v[156:157], -v[158:159]
	scratch_load_b64 v[158:159], off, off offset:212 ; 8-byte Folded Reload
	v_mul_f64 v[191:192], v[245:246], s[40:41]
	v_add_f64 v[23:24], v[207:208], v[23:24]
	v_add_f64 v[33:34], v[156:157], v[33:34]
	s_delay_alu instid0(VALU_DEP_2) | instskip(SKIP_2) | instid1(VALU_DEP_1)
	v_add_f64 v[156:157], v[140:141], v[23:24]
	scratch_load_b64 v[140:141], off, off offset:220 ; 8-byte Folded Reload
	v_mul_f64 v[23:24], v[205:206], s[16:17]
	v_add_f64 v[23:24], v[142:143], v[23:24]
	scratch_load_b64 v[142:143], off, off offset:188 ; 8-byte Folded Reload
	s_waitcnt vmcnt(2)
	v_add_f64 v[154:155], v[154:155], -v[158:159]
	v_mul_f64 v[158:159], v[209:210], s[8:9]
	s_delay_alu instid0(VALU_DEP_2) | instskip(SKIP_1) | instid1(VALU_DEP_3)
	v_add_f64 v[154:155], v[154:155], v[33:34]
	v_mul_f64 v[33:34], v[189:190], s[22:23]
	v_add_f64 v[148:149], v[148:149], v[158:159]
	v_mul_f64 v[158:159], v[201:202], s[8:9]
	s_waitcnt vmcnt(1)
	s_delay_alu instid0(VALU_DEP_3) | instskip(SKIP_1) | instid1(VALU_DEP_3)
	v_add_f64 v[33:34], v[140:141], v[33:34]
	v_mul_f64 v[140:141], v[193:194], s[16:17]
	v_add_f64 v[146:147], v[158:159], -v[146:147]
	v_mul_f64 v[158:159], v[225:226], s[0:1]
	s_delay_alu instid0(VALU_DEP_4) | instskip(NEXT) | instid1(VALU_DEP_4)
	v_add_f64 v[8:9], v[33:34], v[8:9]
	v_add_f64 v[140:141], v[140:141], -v[144:145]
	v_mul_f64 v[144:145], v[185:186], s[22:23]
	v_mul_f64 v[33:34], v[213:214], s[0:1]
	v_add_f64 v[152:153], v[152:153], v[158:159]
	v_mul_f64 v[158:159], v[209:210], s[14:15]
	v_add_f64 v[8:9], v[23:24], v[8:9]
	s_waitcnt vmcnt(0)
	v_add_f64 v[144:145], v[144:145], -v[142:143]
	v_add_f64 v[33:34], v[33:34], -v[17:18]
	s_clause 0x1
	scratch_load_b64 v[142:143], off, off offset:228
	scratch_load_b64 v[17:18], off, off offset:372
	v_add_f64 v[8:9], v[148:149], v[8:9]
	v_add_f64 v[25:26], v[144:145], v[25:26]
	s_delay_alu instid0(VALU_DEP_2) | instskip(SKIP_1) | instid1(VALU_DEP_3)
	v_add_f64 v[8:9], v[152:153], v[8:9]
	v_mul_f64 v[152:153], v[219:220], s[36:37]
	v_add_f64 v[23:24], v[140:141], v[25:26]
	v_mul_f64 v[25:26], v[229:230], s[18:19]
	v_mul_f64 v[140:141], v[221:222], s[18:19]
	s_delay_alu instid0(VALU_DEP_3) | instskip(NEXT) | instid1(VALU_DEP_3)
	v_add_f64 v[23:24], v[146:147], v[23:24]
	v_add_f64 v[25:26], v[150:151], v[25:26]
	s_delay_alu instid0(VALU_DEP_2) | instskip(SKIP_1) | instid1(VALU_DEP_1)
	v_add_f64 v[23:24], v[33:34], v[23:24]
	v_mul_f64 v[33:34], v[205:206], s[8:9]
	v_fma_f64 v[144:145], v[217:218], s[36:37], v[33:34]
	s_waitcnt vmcnt(0)
	v_add_f64 v[13:14], v[13:14], v[17:18]
	v_fma_f64 v[17:18], v[185:186], s[14:15], -v[19:20]
	scratch_load_b64 v[19:20], off, off offset:364 ; 8-byte Folded Reload
	v_add_f64 v[140:141], v[140:141], -v[142:143]
	v_add_f64 v[142:143], v[25:26], v[8:9]
	v_mul_f64 v[8:9], v[189:190], s[18:19]
	s_delay_alu instid0(VALU_DEP_3) | instskip(NEXT) | instid1(VALU_DEP_2)
	v_add_f64 v[140:141], v[140:141], v[23:24]
	v_fma_f64 v[23:24], v[199:200], s[30:31], v[8:9]
	v_fma_f64 v[8:9], v[199:200], s[26:27], v[8:9]
	s_delay_alu instid0(VALU_DEP_2) | instskip(SKIP_2) | instid1(VALU_DEP_3)
	v_add_f64 v[21:22], v[23:24], v[21:22]
	v_mul_f64 v[23:24], v[197:198], s[30:31]
	v_mul_f64 v[197:198], v[229:230], s[0:1]
	v_add_f64 v[21:22], v[144:145], v[21:22]
	s_delay_alu instid0(VALU_DEP_3) | instskip(SKIP_1) | instid1(VALU_DEP_2)
	v_fma_f64 v[25:26], v[185:186], s[18:19], -v[23:24]
	v_fma_f64 v[144:145], v[193:194], s[8:9], -v[152:153]
	v_add_f64 v[25:26], v[25:26], v[162:163]
	v_mul_f64 v[162:163], v[237:238], s[20:21]
	s_delay_alu instid0(VALU_DEP_2) | instskip(SKIP_1) | instid1(VALU_DEP_1)
	v_add_f64 v[25:26], v[144:145], v[25:26]
	v_fma_f64 v[144:145], v[233:234], s[20:21], v[158:159]
	v_add_f64 v[21:22], v[144:145], v[21:22]
	s_delay_alu instid0(VALU_DEP_4) | instskip(NEXT) | instid1(VALU_DEP_1)
	v_fma_f64 v[144:145], v[201:202], s[14:15], -v[162:163]
	v_add_f64 v[25:26], v[144:145], v[25:26]
	v_fma_f64 v[144:145], v[235:236], s[40:41], v[187:188]
	s_delay_alu instid0(VALU_DEP_1) | instskip(SKIP_4) | instid1(VALU_DEP_3)
	v_add_f64 v[21:22], v[144:145], v[21:22]
	v_fma_f64 v[144:145], v[213:214], s[22:23], -v[191:192]
	s_waitcnt vmcnt(0)
	v_add_f64 v[17:18], v[17:18], v[19:20]
	v_fma_f64 v[19:20], v[217:218], s[10:11], v[27:28]
	v_add_f64 v[25:26], v[144:145], v[25:26]
	v_fma_f64 v[144:145], v[239:240], s[42:43], v[197:198]
	s_delay_alu instid0(VALU_DEP_3) | instskip(SKIP_1) | instid1(VALU_DEP_3)
	v_add_f64 v[13:14], v[19:20], v[13:14]
	v_fma_f64 v[19:20], v[193:194], s[0:1], -v[160:161]
	v_add_f64 v[146:147], v[144:145], v[21:22]
	v_fma_f64 v[21:22], v[221:222], s[0:1], -v[195:196]
	s_delay_alu instid0(VALU_DEP_3) | instskip(SKIP_1) | instid1(VALU_DEP_3)
	v_add_f64 v[17:18], v[19:20], v[17:18]
	v_fma_f64 v[19:20], v[233:234], s[40:41], v[165:166]
	v_add_f64 v[144:145], v[21:22], v[25:26]
	scratch_load_b64 v[21:22], off, off offset:356 ; 8-byte Folded Reload
	v_add_f64 v[13:14], v[19:20], v[13:14]
	v_fma_f64 v[19:20], v[201:202], s[22:23], -v[167:168]
	s_delay_alu instid0(VALU_DEP_1) | instskip(SKIP_1) | instid1(VALU_DEP_1)
	v_add_f64 v[17:18], v[19:20], v[17:18]
	v_fma_f64 v[19:20], v[235:236], s[36:37], v[241:242]
	v_add_f64 v[13:14], v[19:20], v[13:14]
	v_fma_f64 v[19:20], v[213:214], s[8:9], -v[243:244]
	s_delay_alu instid0(VALU_DEP_1) | instskip(SKIP_1) | instid1(VALU_DEP_2)
	v_add_f64 v[17:18], v[19:20], v[17:18]
	v_fma_f64 v[19:20], v[239:240], s[24:25], v[31:32]
	v_add_f64 v[148:149], v[15:16], v[17:18]
	s_delay_alu instid0(VALU_DEP_2)
	v_add_f64 v[150:151], v[19:20], v[13:14]
	v_fma_f64 v[13:14], v[217:218], s[12:13], v[33:34]
	v_fma_f64 v[15:16], v[233:234], s[34:35], v[158:159]
	;; [unrolled: 1-line block ×4, first 2 shown]
	s_waitcnt vmcnt(0)
	v_add_f64 v[8:9], v[8:9], v[21:22]
	v_fma_f64 v[21:22], v[185:186], s[18:19], v[23:24]
	scratch_load_b64 v[23:24], off, off offset:348 ; 8-byte Folded Reload
	v_add_f64 v[8:9], v[13:14], v[8:9]
	v_fma_f64 v[13:14], v[193:194], s[8:9], v[152:153]
	s_delay_alu instid0(VALU_DEP_2) | instskip(SKIP_1) | instid1(VALU_DEP_2)
	v_add_f64 v[8:9], v[15:16], v[8:9]
	v_fma_f64 v[15:16], v[201:202], s[14:15], v[162:163]
	v_add_f64 v[8:9], v[17:18], v[8:9]
	v_mul_f64 v[17:18], v[193:194], s[14:15]
	s_delay_alu instid0(VALU_DEP_2) | instskip(SKIP_3) | instid1(VALU_DEP_2)
	v_add_f64 v[160:161], v[19:20], v[8:9]
	scratch_load_b64 v[19:20], off, off offset:332 ; 8-byte Folded Reload
	v_mul_f64 v[8:9], v[189:190], s[0:1]
	v_add_f64 v[17:18], v[17:18], -v[211:212]
	v_add_f64 v[8:9], v[203:204], v[8:9]
	s_waitcnt vmcnt(1)
	v_add_f64 v[21:22], v[21:22], v[23:24]
	s_delay_alu instid0(VALU_DEP_1) | instskip(SKIP_1) | instid1(VALU_DEP_2)
	v_add_f64 v[13:14], v[13:14], v[21:22]
	v_mul_f64 v[21:22], v[201:202], s[16:17]
	v_add_f64 v[13:14], v[15:16], v[13:14]
	v_fma_f64 v[15:16], v[213:214], s[22:23], v[191:192]
	s_delay_alu instid0(VALU_DEP_3) | instskip(NEXT) | instid1(VALU_DEP_2)
	v_add_f64 v[21:22], v[21:22], -v[215:216]
	v_add_f64 v[13:14], v[15:16], v[13:14]
	v_fma_f64 v[15:16], v[221:222], s[0:1], v[195:196]
	s_waitcnt vmcnt(0)
	v_add_f64 v[8:9], v[8:9], v[19:20]
	scratch_load_b64 v[19:20], off, off offset:340 ; 8-byte Folded Reload
	v_add_f64 v[158:159], v[15:16], v[13:14]
	v_mul_f64 v[13:14], v[185:186], s[0:1]
	v_mul_f64 v[15:16], v[205:206], s[14:15]
	s_delay_alu instid0(VALU_DEP_2) | instskip(NEXT) | instid1(VALU_DEP_2)
	v_add_f64 v[13:14], v[13:14], -v[249:250]
	v_add_f64 v[15:16], v[223:224], v[15:16]
	s_delay_alu instid0(VALU_DEP_1) | instskip(SKIP_1) | instid1(VALU_DEP_1)
	v_add_f64 v[8:9], v[15:16], v[8:9]
	v_mul_f64 v[15:16], v[225:226], s[18:19]
	v_add_f64 v[15:16], v[253:254], v[15:16]
	s_waitcnt vmcnt(0)
	v_add_f64 v[13:14], v[13:14], v[19:20]
	v_mul_f64 v[19:20], v[209:210], s[16:17]
	s_delay_alu instid0(VALU_DEP_2) | instskip(NEXT) | instid1(VALU_DEP_2)
	v_add_f64 v[13:14], v[17:18], v[13:14]
	v_add_f64 v[19:20], v[227:228], v[19:20]
	v_mul_f64 v[17:18], v[213:214], s[18:19]
	s_delay_alu instid0(VALU_DEP_3) | instskip(SKIP_4) | instid1(VALU_DEP_3)
	v_add_f64 v[13:14], v[21:22], v[13:14]
	scratch_load_b64 v[21:22], off, off offset:172 ; 8-byte Folded Reload
	v_add_f64 v[8:9], v[19:20], v[8:9]
	v_mul_f64 v[19:20], v[229:230], s[22:23]
	v_add_f64 v[17:18], v[17:18], -v[231:232]
	v_add_f64 v[8:9], v[15:16], v[8:9]
	s_delay_alu instid0(VALU_DEP_2) | instskip(SKIP_1) | instid1(VALU_DEP_4)
	v_add_f64 v[13:14], v[17:18], v[13:14]
	s_waitcnt vmcnt(0)
	v_add_f64 v[19:20], v[21:22], v[19:20]
	v_mul_f64 v[21:22], v[221:222], s[22:23]
	s_delay_alu instid0(VALU_DEP_2) | instskip(NEXT) | instid1(VALU_DEP_2)
	v_add_f64 v[187:188], v[19:20], v[8:9]
	v_add_f64 v[21:22], v[21:22], -v[251:252]
	s_delay_alu instid0(VALU_DEP_1)
	v_add_f64 v[185:186], v[21:22], v[13:14]
	s_clause 0x1
	scratch_load_b64 v[8:9], off, off offset:292
	scratch_load_b64 v[13:14], off, off offset:316
	s_waitcnt vmcnt(0)
	v_add_f64 v[8:9], v[13:14], v[8:9]
	s_clause 0x1
	scratch_load_b64 v[13:14], off, off offset:284
	scratch_load_b64 v[15:16], off, off offset:324
	s_waitcnt vmcnt(0)
	v_add_f64 v[13:14], v[15:16], v[13:14]
	scratch_load_b64 v[15:16], off, off offset:308 ; 8-byte Folded Reload
	s_waitcnt vmcnt(0)
	v_add_f64 v[8:9], v[8:9], v[15:16]
	scratch_load_b64 v[15:16], off, off offset:300 ; 8-byte Folded Reload
	v_add_f64 v[8:9], v[8:9], v[173:174]
	s_waitcnt vmcnt(0)
	v_add_f64 v[13:14], v[13:14], v[15:16]
	scratch_load_b64 v[15:16], off, off offset:396 ; 8-byte Folded Reload
	v_add_f64 v[13:14], v[13:14], v[183:184]
	s_delay_alu instid0(VALU_DEP_1)
	v_add_f64 v[13:14], v[13:14], v[169:170]
	s_waitcnt vmcnt(0)
	v_add_f64 v[8:9], v[8:9], v[15:16]
	scratch_load_b64 v[15:16], off, off offset:388 ; 8-byte Folded Reload
	v_add_f64 v[8:9], v[8:9], v[181:182]
	s_waitcnt vmcnt(0)
	v_add_f64 v[13:14], v[13:14], v[15:16]
	scratch_load_b64 v[15:16], off, off offset:380 ; 8-byte Folded Reload
	v_add_f64 v[13:14], v[13:14], v[179:180]
	s_delay_alu instid0(VALU_DEP_1) | instskip(NEXT) | instid1(VALU_DEP_1)
	v_add_f64 v[13:14], v[13:14], v[177:178]
	v_add_f64 v[13:14], v[13:14], v[37:38]
	s_delay_alu instid0(VALU_DEP_1) | instskip(SKIP_4) | instid1(VALU_DEP_1)
	v_add_f64 v[13:14], v[13:14], v[171:172]
	s_waitcnt vmcnt(0)
	v_add_f64 v[8:9], v[8:9], v[15:16]
	scratch_load_b64 v[15:16], off, off offset:268 ; 8-byte Folded Reload
	v_add_f64 v[8:9], v[8:9], v[175:176]
	v_add_f64 v[8:9], v[8:9], v[35:36]
	s_delay_alu instid0(VALU_DEP_1) | instskip(SKIP_1) | instid1(VALU_DEP_1)
	v_add_f64 v[8:9], v[8:9], v[29:30]
	s_waitcnt vmcnt(0)
	v_add_f64 v[8:9], v[8:9], v[15:16]
	scratch_load_b64 v[15:16], off, off offset:276 ; 8-byte Folded Reload
	s_waitcnt vmcnt(0)
	v_add_f64 v[13:14], v[13:14], v[15:16]
	scratch_load_b64 v[15:16], off, off offset:252 ; 8-byte Folded Reload
	s_waitcnt vmcnt(0)
	v_add_f64 v[167:168], v[8:9], v[15:16]
	scratch_load_b64 v[8:9], off, off offset:260 ; 8-byte Folded Reload
	s_waitcnt vmcnt(0)
	v_add_f64 v[165:166], v[13:14], v[8:9]
	ds_store_b128 v11, v[154:157] offset:3200
	ds_store_b128 v11, v[140:143] offset:4800
	;; [unrolled: 1-line block ×11, first 2 shown]
	ds_store_b128 v11, v[165:168]
	ds_store_b128 v11, v[124:127] offset:19200
.LBB0_5:
	s_or_b32 exec_lo, exec_lo, s33
	v_add_co_u32 v4, s0, 0x5140, v164
	s_delay_alu instid0(VALU_DEP_1) | instskip(SKIP_1) | instid1(VALU_DEP_1)
	v_add_co_ci_u32_e64 v5, s0, 0, v255, s0
	v_add_co_u32 v0, s0, 0x5000, v164
	v_add_co_ci_u32_e64 v1, s0, 0, v255, s0
	v_add_co_u32 v8, s0, 0x6000, v164
	s_delay_alu instid0(VALU_DEP_1) | instskip(SKIP_1) | instid1(VALU_DEP_1)
	v_add_co_ci_u32_e64 v9, s0, 0, v255, s0
	v_add_co_u32 v13, s0, 0x7000, v164
	v_add_co_ci_u32_e64 v14, s0, 0, v255, s0
	s_waitcnt lgkmcnt(0)
	s_waitcnt_vscnt null, 0x0
	s_barrier
	buffer_gl0_inv
	s_clause 0x5
	global_load_b128 v[0:3], v[0:1], off offset:320
	global_load_b128 v[4:7], v[4:5], off offset:2080
	;; [unrolled: 1-line block ×6, first 2 shown]
	v_add_co_u32 v8, s0, 0x8000, v164
	s_delay_alu instid0(VALU_DEP_1) | instskip(SKIP_1) | instid1(VALU_DEP_1)
	v_add_co_ci_u32_e64 v9, s0, 0, v255, s0
	v_add_co_u32 v13, s0, 0x9000, v164
	v_add_co_ci_u32_e64 v14, s0, 0, v255, s0
	s_clause 0x3
	global_load_b128 v[152:155], v[8:9], off offset:512
	global_load_b128 v[156:159], v[8:9], off offset:2592
	;; [unrolled: 1-line block ×4, first 2 shown]
	ds_load_b128 v[168:171], v11
	ds_load_b128 v[172:175], v11 offset:2080
	ds_load_b128 v[176:179], v11 offset:4160
	;; [unrolled: 1-line block ×9, first 2 shown]
	s_mov_b32 s10, 0x134454ff
	s_mov_b32 s11, 0xbfee6f0e
	;; [unrolled: 1-line block ×16, first 2 shown]
	s_waitcnt vmcnt(9) lgkmcnt(9)
	v_mul_f64 v[8:9], v[170:171], v[2:3]
	v_mul_f64 v[2:3], v[168:169], v[2:3]
	s_waitcnt vmcnt(8) lgkmcnt(8)
	v_mul_f64 v[13:14], v[174:175], v[6:7]
	v_mul_f64 v[15:16], v[172:173], v[6:7]
	;; [unrolled: 3-line block ×10, first 2 shown]
	v_fma_f64 v[6:7], v[168:169], v[0:1], -v[8:9]
	v_fma_f64 v[8:9], v[170:171], v[0:1], v[2:3]
	v_fma_f64 v[0:1], v[172:173], v[4:5], -v[13:14]
	v_fma_f64 v[2:3], v[174:175], v[4:5], v[15:16]
	;; [unrolled: 2-line block ×10, first 2 shown]
	ds_store_b128 v11, v[6:9]
	ds_store_b128 v11, v[0:3] offset:2080
	ds_store_b128 v11, v[166:169] offset:4160
	;; [unrolled: 1-line block ×9, first 2 shown]
	s_waitcnt lgkmcnt(0)
	s_barrier
	buffer_gl0_inv
	ds_load_b128 v[0:3], v11 offset:6240
	ds_load_b128 v[4:7], v11 offset:10400
	;; [unrolled: 1-line block ×9, first 2 shown]
	ds_load_b128 v[164:167], v11
	s_waitcnt lgkmcnt(0)
	s_barrier
	buffer_gl0_inv
	v_add_f64 v[33:34], v[0:1], -v[4:5]
	v_add_f64 v[8:9], v[6:7], v[138:139]
	v_add_f64 v[13:14], v[2:3], v[142:143]
	;; [unrolled: 1-line block ×4, first 2 shown]
	v_add_f64 v[19:20], v[0:1], -v[140:141]
	v_add_f64 v[21:22], v[4:5], -v[136:137]
	;; [unrolled: 1-line block ×3, first 2 shown]
	v_add_f64 v[25:26], v[152:153], v[156:157]
	v_add_f64 v[27:28], v[148:149], v[160:161]
	;; [unrolled: 1-line block ×3, first 2 shown]
	v_add_f64 v[168:169], v[140:141], -v[136:137]
	v_add_f64 v[170:171], v[2:3], -v[6:7]
	;; [unrolled: 1-line block ×4, first 2 shown]
	v_add_f64 v[31:32], v[150:151], v[162:163]
	v_add_f64 v[174:175], v[6:7], -v[2:3]
	v_add_f64 v[176:177], v[138:139], -v[142:143]
	v_add_f64 v[186:187], v[164:165], v[148:149]
	v_add_f64 v[192:193], v[166:167], v[150:151]
	v_add_f64 v[2:3], v[146:147], v[2:3]
	v_add_f64 v[188:189], v[150:151], -v[162:163]
	v_add_f64 v[194:195], v[148:149], -v[160:161]
	;; [unrolled: 1-line block ×4, first 2 shown]
	v_fma_f64 v[8:9], v[8:9], -0.5, v[146:147]
	v_fma_f64 v[13:14], v[13:14], -0.5, v[146:147]
	;; [unrolled: 1-line block ×4, first 2 shown]
	v_add_f64 v[144:145], v[144:145], v[0:1]
	v_add_f64 v[0:1], v[4:5], -v[0:1]
	v_add_f64 v[146:147], v[152:153], -v[156:157]
	v_fma_f64 v[25:26], v[25:26], -0.5, v[164:165]
	v_fma_f64 v[27:28], v[27:28], -0.5, v[164:165]
	;; [unrolled: 1-line block ×3, first 2 shown]
	v_add_f64 v[33:34], v[33:34], v[168:169]
	v_add_f64 v[164:165], v[170:171], v[172:173]
	v_fma_f64 v[31:32], v[31:32], -0.5, v[166:167]
	v_add_f64 v[166:167], v[174:175], v[176:177]
	v_add_f64 v[174:175], v[160:161], -v[156:157]
	v_add_f64 v[176:177], v[156:157], -v[160:161]
	v_add_f64 v[2:3], v[2:3], v[6:7]
	v_fma_f64 v[180:181], v[19:20], s[0:1], v[8:9]
	v_fma_f64 v[182:183], v[21:22], s[10:11], v[13:14]
	;; [unrolled: 1-line block ×8, first 2 shown]
	v_add_f64 v[4:5], v[144:145], v[4:5]
	v_add_f64 v[0:1], v[0:1], v[196:197]
	v_fma_f64 v[6:7], v[188:189], s[10:11], v[25:26]
	v_fma_f64 v[25:26], v[188:189], s[0:1], v[25:26]
	;; [unrolled: 1-line block ×4, first 2 shown]
	v_add_f64 v[2:3], v[2:3], v[138:139]
	v_fma_f64 v[170:171], v[21:22], s[8:9], v[180:181]
	v_fma_f64 v[172:173], v[19:20], s[8:9], v[182:183]
	;; [unrolled: 1-line block ×5, first 2 shown]
	v_add_f64 v[21:22], v[148:149], -v[152:153]
	v_add_f64 v[148:149], v[152:153], -v[148:149]
	;; [unrolled: 1-line block ×4, first 2 shown]
	v_add_f64 v[152:153], v[186:187], v[152:153]
	v_add_f64 v[154:155], v[192:193], v[154:155]
	v_add_f64 v[182:183], v[162:163], -v[158:159]
	v_fma_f64 v[186:187], v[194:195], s[0:1], v[29:30]
	v_fma_f64 v[15:16], v[178:179], s[8:9], v[15:16]
	;; [unrolled: 1-line block ×4, first 2 shown]
	v_add_f64 v[184:185], v[158:159], -v[162:163]
	v_fma_f64 v[29:30], v[194:195], s[10:11], v[29:30]
	v_fma_f64 v[192:193], v[146:147], s[10:11], v[31:32]
	;; [unrolled: 1-line block ×3, first 2 shown]
	v_add_f64 v[4:5], v[4:5], v[136:137]
	v_fma_f64 v[6:7], v[190:191], s[14:15], v[6:7]
	v_fma_f64 v[25:26], v[190:191], s[8:9], v[25:26]
	;; [unrolled: 1-line block ×9, first 2 shown]
	v_add_f64 v[21:22], v[21:22], v[174:175]
	v_add_f64 v[148:149], v[148:149], v[176:177]
	;; [unrolled: 1-line block ×5, first 2 shown]
	v_fma_f64 v[138:139], v[146:147], s[8:9], v[186:187]
	v_fma_f64 v[15:16], v[33:34], s[12:13], v[15:16]
	v_fma_f64 v[33:34], v[0:1], s[12:13], v[168:169]
	v_fma_f64 v[0:1], v[0:1], s[12:13], v[17:18]
	v_add_f64 v[150:151], v[150:151], v[184:185]
	v_fma_f64 v[29:30], v[146:147], s[14:15], v[29:30]
	v_fma_f64 v[144:145], v[194:195], s[8:9], v[192:193]
	;; [unrolled: 1-line block ×3, first 2 shown]
	v_add_f64 v[4:5], v[4:5], v[140:141]
	v_add_f64 v[140:141], v[2:3], v[142:143]
	v_mul_f64 v[17:18], v[23:24], s[14:15]
	v_mul_f64 v[146:147], v[170:171], s[10:11]
	;; [unrolled: 1-line block ×8, first 2 shown]
	v_fma_f64 v[27:28], v[148:149], s[12:13], v[27:28]
	v_add_f64 v[152:153], v[152:153], v[160:161]
	v_add_f64 v[154:155], v[154:155], v[162:163]
	v_fma_f64 v[160:161], v[21:22], s[12:13], v[6:7]
	v_fma_f64 v[162:163], v[164:165], s[12:13], v[138:139]
	;; [unrolled: 1-line block ×15, first 2 shown]
	v_add_f64 v[0:1], v[152:153], v[4:5]
	v_add_f64 v[2:3], v[154:155], v[140:141]
	v_add_f64 v[6:7], v[154:155], -v[140:141]
	v_add_f64 v[4:5], v[152:153], -v[4:5]
	v_add_f64 v[136:137], v[160:161], v[17:18]
	v_add_f64 v[140:141], v[25:26], v[19:20]
	;; [unrolled: 1-line block ×8, first 2 shown]
	v_add_f64 v[152:153], v[160:161], -v[17:18]
	v_add_f64 v[154:155], v[162:163], -v[23:24]
	;; [unrolled: 1-line block ×8, first 2 shown]
	ds_store_b128 v12, v[0:3]
	ds_store_b128 v12, v[136:139] offset:16
	ds_store_b128 v12, v[140:143] offset:32
	;; [unrolled: 1-line block ×9, first 2 shown]
	s_waitcnt lgkmcnt(0)
	s_barrier
	buffer_gl0_inv
	ds_load_b128 v[0:3], v11 offset:6240
	ds_load_b128 v[4:7], v11 offset:10400
	;; [unrolled: 1-line block ×6, first 2 shown]
	s_waitcnt lgkmcnt(5)
	v_mul_f64 v[8:9], v[62:63], v[0:1]
	s_waitcnt lgkmcnt(4)
	v_mul_f64 v[16:17], v[74:75], v[4:5]
	;; [unrolled: 2-line block ×5, first 2 shown]
	v_mul_f64 v[24:25], v[62:63], v[2:3]
	v_mul_f64 v[26:27], v[74:75], v[6:7]
	v_mul_f64 v[28:29], v[70:71], v[14:15]
	v_mul_f64 v[30:31], v[78:79], v[138:139]
	v_mul_f64 v[42:43], v[42:43], v[142:143]
	v_fma_f64 v[32:33], v[60:61], v[2:3], -v[8:9]
	v_fma_f64 v[16:17], v[72:73], v[6:7], -v[16:17]
	;; [unrolled: 1-line block ×4, first 2 shown]
	ds_load_b128 v[6:9], v11 offset:8320
	ds_load_b128 v[148:151], v11 offset:12480
	;; [unrolled: 1-line block ×3, first 2 shown]
	s_waitcnt lgkmcnt(3)
	v_mul_f64 v[2:3], v[58:59], v[146:147]
	v_mul_f64 v[20:21], v[58:59], v[144:145]
	v_fma_f64 v[24:25], v[60:61], v[0:1], v[24:25]
	v_fma_f64 v[4:5], v[72:73], v[4:5], v[26:27]
	v_fma_f64 v[12:13], v[68:69], v[12:13], v[28:29]
	v_fma_f64 v[26:27], v[76:77], v[136:137], v[30:31]
	v_fma_f64 v[22:23], v[40:41], v[142:143], -v[22:23]
	v_fma_f64 v[40:41], v[40:41], v[140:141], v[42:43]
	s_waitcnt lgkmcnt(2)
	v_mul_f64 v[34:35], v[54:55], v[8:9]
	v_mul_f64 v[54:55], v[54:55], v[6:7]
	s_waitcnt lgkmcnt(1)
	v_mul_f64 v[58:59], v[50:51], v[150:151]
	s_waitcnt lgkmcnt(0)
	v_mul_f64 v[62:63], v[46:47], v[154:155]
	v_mul_f64 v[50:51], v[50:51], v[148:149]
	;; [unrolled: 1-line block ×3, first 2 shown]
	v_add_f64 v[72:73], v[32:33], -v[16:17]
	v_add_f64 v[0:1], v[16:17], v[14:15]
	v_add_f64 v[28:29], v[32:33], v[18:19]
	v_add_f64 v[70:71], v[32:33], -v[18:19]
	v_fma_f64 v[30:31], v[56:57], v[144:145], v[2:3]
	v_fma_f64 v[20:21], v[56:57], v[146:147], -v[20:21]
	v_add_f64 v[74:75], v[18:19], -v[14:15]
	v_add_f64 v[76:77], v[16:17], -v[32:33]
	v_add_f64 v[42:43], v[4:5], v[12:13]
	v_add_f64 v[78:79], v[14:15], -v[18:19]
	v_add_f64 v[136:137], v[16:17], -v[14:15]
	v_fma_f64 v[6:7], v[52:53], v[6:7], v[34:35]
	v_fma_f64 v[8:9], v[52:53], v[8:9], -v[54:55]
	v_fma_f64 v[34:35], v[48:49], v[148:149], v[58:59]
	v_fma_f64 v[52:53], v[44:45], v[152:153], v[62:63]
	v_fma_f64 v[48:49], v[48:49], v[150:151], -v[50:51]
	v_fma_f64 v[44:45], v[44:45], v[154:155], -v[46:47]
	v_add_f64 v[46:47], v[24:25], v[26:27]
	v_add_f64 v[50:51], v[24:25], -v[26:27]
	v_add_f64 v[54:55], v[4:5], -v[12:13]
	;; [unrolled: 1-line block ×5, first 2 shown]
	v_fma_f64 v[56:57], v[0:1], -0.5, v[22:23]
	v_fma_f64 v[28:29], v[28:29], -0.5, v[22:23]
	ds_load_b128 v[0:3], v11
	v_add_f64 v[22:23], v[22:23], v[32:33]
	s_waitcnt lgkmcnt(0)
	s_barrier
	buffer_gl0_inv
	v_fma_f64 v[42:43], v[42:43], -0.5, v[40:41]
	v_add_f64 v[156:157], v[20:21], -v[8:9]
	v_add_f64 v[58:59], v[6:7], v[34:35]
	v_add_f64 v[60:61], v[30:31], v[52:53]
	;; [unrolled: 1-line block ×4, first 2 shown]
	v_fma_f64 v[46:47], v[46:47], -0.5, v[40:41]
	v_add_f64 v[142:143], v[0:1], v[30:31]
	v_add_f64 v[144:145], v[20:21], -v[44:45]
	v_add_f64 v[146:147], v[8:9], -v[48:49]
	v_add_f64 v[148:149], v[2:3], v[20:21]
	v_add_f64 v[40:41], v[40:41], v[24:25]
	v_add_f64 v[24:25], v[4:5], -v[24:25]
	v_add_f64 v[158:159], v[44:45], -v[48:49]
	;; [unrolled: 1-line block ×4, first 2 shown]
	v_fma_f64 v[138:139], v[50:51], s[0:1], v[56:57]
	v_fma_f64 v[140:141], v[54:55], s[10:11], v[28:29]
	;; [unrolled: 1-line block ×4, first 2 shown]
	v_add_f64 v[16:17], v[22:23], v[16:17]
	v_fma_f64 v[32:33], v[58:59], -0.5, v[0:1]
	v_add_f64 v[58:59], v[30:31], -v[52:53]
	v_fma_f64 v[0:1], v[60:61], -0.5, v[0:1]
	v_add_f64 v[60:61], v[6:7], -v[34:35]
	v_fma_f64 v[62:63], v[62:63], -0.5, v[2:3]
	v_fma_f64 v[2:3], v[68:69], -0.5, v[2:3]
	v_add_f64 v[68:69], v[72:73], v[74:75]
	v_add_f64 v[72:73], v[76:77], v[78:79]
	v_fma_f64 v[74:75], v[70:71], s[10:11], v[42:43]
	v_fma_f64 v[42:43], v[70:71], s[0:1], v[42:43]
	;; [unrolled: 1-line block ×4, first 2 shown]
	v_add_f64 v[8:9], v[148:149], v[8:9]
	v_add_f64 v[4:5], v[40:41], v[4:5]
	;; [unrolled: 1-line block ×4, first 2 shown]
	v_fma_f64 v[78:79], v[54:55], s[8:9], v[138:139]
	v_fma_f64 v[138:139], v[50:51], s[8:9], v[140:141]
	;; [unrolled: 1-line block ×4, first 2 shown]
	v_add_f64 v[54:55], v[30:31], -v[6:7]
	v_add_f64 v[56:57], v[52:53], -v[34:35]
	;; [unrolled: 1-line block ×4, first 2 shown]
	v_add_f64 v[6:7], v[142:143], v[6:7]
	v_add_f64 v[20:21], v[20:21], v[160:161]
	v_fma_f64 v[22:23], v[144:145], s[10:11], v[32:33]
	v_fma_f64 v[32:33], v[144:145], s[0:1], v[32:33]
	;; [unrolled: 1-line block ×12, first 2 shown]
	v_add_f64 v[8:9], v[8:9], v[48:49]
	v_add_f64 v[4:5], v[4:5], v[12:13]
	;; [unrolled: 1-line block ×3, first 2 shown]
	v_fma_f64 v[70:71], v[68:69], s[12:13], v[78:79]
	v_fma_f64 v[78:79], v[72:73], s[12:13], v[138:139]
	;; [unrolled: 1-line block ×4, first 2 shown]
	v_add_f64 v[54:55], v[54:55], v[56:57]
	v_add_f64 v[56:57], v[156:157], v[158:159]
	;; [unrolled: 1-line block ×4, first 2 shown]
	v_fma_f64 v[14:15], v[146:147], s[14:15], v[22:23]
	v_fma_f64 v[16:17], v[146:147], s[8:9], v[32:33]
	;; [unrolled: 1-line block ×12, first 2 shown]
	v_add_f64 v[8:9], v[8:9], v[44:45]
	v_add_f64 v[4:5], v[4:5], v[26:27]
	;; [unrolled: 1-line block ×3, first 2 shown]
	v_mul_f64 v[46:47], v[70:71], s[14:15]
	v_mul_f64 v[60:61], v[78:79], s[10:11]
	;; [unrolled: 1-line block ×8, first 2 shown]
	v_add_f64 v[6:7], v[6:7], v[52:53]
	v_fma_f64 v[14:15], v[54:55], s[12:13], v[14:15]
	v_fma_f64 v[16:17], v[54:55], s[12:13], v[16:17]
	;; [unrolled: 1-line block ×16, first 2 shown]
	v_add_f64 v[40:41], v[6:7], v[4:5]
	v_add_f64 v[42:43], v[8:9], v[12:13]
	v_add_f64 v[60:61], v[6:7], -v[4:5]
	v_add_f64 v[62:63], v[8:9], -v[12:13]
	v_add_f64 v[48:49], v[14:15], v[20:21]
	v_add_f64 v[44:45], v[18:19], v[32:33]
	v_add_f64 v[52:53], v[0:1], v[34:35]
	v_add_f64 v[56:57], v[16:17], v[74:75]
	v_add_f64 v[50:51], v[22:23], v[70:71]
	v_add_f64 v[46:47], v[30:31], v[78:79]
	v_add_f64 v[54:55], v[2:3], v[24:25]
	v_add_f64 v[58:59], v[26:27], v[28:29]
	v_add_f64 v[72:73], v[14:15], -v[20:21]
	v_add_f64 v[136:137], v[18:19], -v[32:33]
	;; [unrolled: 1-line block ×8, first 2 shown]
	ds_store_b128 v10, v[40:43]
	ds_store_b128 v10, v[48:51] offset:160
	ds_store_b128 v10, v[44:47] offset:320
	;; [unrolled: 1-line block ×9, first 2 shown]
	s_waitcnt lgkmcnt(0)
	s_barrier
	buffer_gl0_inv
	s_and_saveexec_b32 s0, vcc_lo
	s_cbranch_execz .LBB0_7
; %bb.6:
	ds_load_b128 v[40:43], v11
	ds_load_b128 v[48:51], v11 offset:1600
	ds_load_b128 v[44:47], v11 offset:3200
	;; [unrolled: 1-line block ×12, first 2 shown]
.LBB0_7:
	s_or_b32 exec_lo, exec_lo, s0
	s_delay_alu instid0(SALU_CYCLE_1) | instskip(SKIP_2) | instid1(SALU_CYCLE_1)
	s_mov_b32 s33, exec_lo
	scratch_load_b32 v140, off, off offset:8 ; 4-byte Folded Reload
	s_and_b32 s0, s33, vcc_lo
	s_mov_b32 exec_lo, s0
	s_cbranch_execz .LBB0_9
; %bb.8:
	s_waitcnt lgkmcnt(6)
	v_mul_f64 v[0:1], v[118:119], v[74:75]
	s_mov_b32 s35, 0x3fddbe06
	s_mov_b32 s34, 0x4267c47c
	;; [unrolled: 1-line block ×30, first 2 shown]
	s_delay_alu instid0(VALU_DEP_1) | instskip(SKIP_1) | instid1(VALU_DEP_1)
	v_fma_f64 v[141:142], v[116:117], v[72:73], v[0:1]
	v_mul_f64 v[0:1], v[118:119], v[72:73]
	v_fma_f64 v[74:75], v[116:117], v[74:75], -v[0:1]
	s_waitcnt lgkmcnt(5)
	v_mul_f64 v[0:1], v[122:123], v[138:139]
	s_delay_alu instid0(VALU_DEP_1) | instskip(SKIP_1) | instid1(VALU_DEP_2)
	v_fma_f64 v[72:73], v[120:121], v[136:137], v[0:1]
	v_mul_f64 v[0:1], v[122:123], v[136:137]
	v_add_f64 v[177:178], v[141:142], v[72:73]
	s_delay_alu instid0(VALU_DEP_2) | instskip(SKIP_1) | instid1(VALU_DEP_2)
	v_fma_f64 v[116:117], v[120:121], v[138:139], -v[0:1]
	v_mul_f64 v[0:1], v[110:111], v[62:63]
	v_add_f64 v[173:174], v[74:75], v[116:117]
	s_delay_alu instid0(VALU_DEP_2) | instskip(SKIP_1) | instid1(VALU_DEP_1)
	v_fma_f64 v[118:119], v[108:109], v[60:61], v[0:1]
	v_mul_f64 v[0:1], v[110:111], v[60:61]
	v_fma_f64 v[60:61], v[108:109], v[62:63], -v[0:1]
	v_mul_f64 v[0:1], v[66:67], v[50:51]
	s_delay_alu instid0(VALU_DEP_1) | instskip(SKIP_1) | instid1(VALU_DEP_2)
	v_fma_f64 v[108:109], v[64:65], v[48:49], v[0:1]
	v_mul_f64 v[0:1], v[66:67], v[48:49]
	v_add_f64 v[149:150], v[40:41], v[108:109]
	s_delay_alu instid0(VALU_DEP_2) | instskip(SKIP_2) | instid1(VALU_DEP_1)
	v_fma_f64 v[110:111], v[64:65], v[50:51], -v[0:1]
	s_waitcnt lgkmcnt(4)
	v_mul_f64 v[0:1], v[114:115], v[70:71]
	v_fma_f64 v[48:49], v[112:113], v[68:69], v[0:1]
	v_mul_f64 v[0:1], v[114:115], v[68:69]
	s_delay_alu instid0(VALU_DEP_2) | instskip(NEXT) | instid1(VALU_DEP_2)
	v_add_f64 v[171:172], v[118:119], v[48:49]
	v_fma_f64 v[50:51], v[112:113], v[70:71], -v[0:1]
	v_mul_f64 v[0:1], v[102:103], v[58:59]
	s_delay_alu instid0(VALU_DEP_2) | instskip(NEXT) | instid1(VALU_DEP_2)
	v_add_f64 v[169:170], v[60:61], v[50:51]
	v_fma_f64 v[62:63], v[100:101], v[56:57], v[0:1]
	v_mul_f64 v[0:1], v[102:103], v[56:57]
	s_delay_alu instid0(VALU_DEP_1) | instskip(SKIP_2) | instid1(VALU_DEP_1)
	v_fma_f64 v[64:65], v[100:101], v[58:59], -v[0:1]
	s_waitcnt lgkmcnt(3)
	v_mul_f64 v[0:1], v[106:107], v[78:79]
	v_fma_f64 v[56:57], v[104:105], v[76:77], v[0:1]
	v_mul_f64 v[0:1], v[106:107], v[76:77]
	s_delay_alu instid0(VALU_DEP_2) | instskip(NEXT) | instid1(VALU_DEP_2)
	v_add_f64 v[167:168], v[62:63], v[56:57]
	v_fma_f64 v[58:59], v[104:105], v[78:79], -v[0:1]
	v_mul_f64 v[0:1], v[94:95], v[54:55]
	s_delay_alu instid0(VALU_DEP_2) | instskip(NEXT) | instid1(VALU_DEP_2)
	v_add_f64 v[165:166], v[64:65], v[58:59]
	v_fma_f64 v[68:69], v[92:93], v[52:53], v[0:1]
	v_mul_f64 v[0:1], v[94:95], v[52:53]
	s_delay_alu instid0(VALU_DEP_1) | instskip(SKIP_3) | instid1(VALU_DEP_2)
	v_fma_f64 v[76:77], v[92:93], v[54:55], -v[0:1]
	s_waitcnt lgkmcnt(2)
	v_mul_f64 v[0:1], v[98:99], v[134:135]
	v_add_f64 v[92:93], v[62:63], -v[56:57]
	v_fma_f64 v[52:53], v[96:97], v[132:133], v[0:1]
	v_mul_f64 v[0:1], v[98:99], v[132:133]
	s_delay_alu instid0(VALU_DEP_3) | instskip(SKIP_1) | instid1(VALU_DEP_4)
	v_mul_f64 v[6:7], v[92:93], s[34:35]
	v_mul_f64 v[183:184], v[92:93], s[36:37]
	v_add_f64 v[163:164], v[68:69], v[52:53]
	s_delay_alu instid0(VALU_DEP_4) | instskip(SKIP_2) | instid1(VALU_DEP_3)
	v_fma_f64 v[54:55], v[96:97], v[134:135], -v[0:1]
	v_mul_f64 v[0:1], v[86:87], v[46:47]
	v_add_f64 v[96:97], v[68:69], -v[52:53]
	v_add_f64 v[94:95], v[76:77], -v[54:55]
	s_delay_alu instid0(VALU_DEP_3)
	v_fma_f64 v[78:79], v[84:85], v[44:45], v[0:1]
	v_mul_f64 v[0:1], v[86:87], v[44:45]
	v_add_f64 v[86:87], v[118:119], -v[48:49]
	v_mul_f64 v[102:103], v[96:97], s[34:35]
	v_add_f64 v[161:162], v[76:77], v[54:55]
	v_mul_f64 v[104:105], v[94:95], s[34:35]
	v_mul_f64 v[181:182], v[94:95], s[18:19]
	v_fma_f64 v[84:85], v[84:85], v[46:47], -v[0:1]
	s_waitcnt lgkmcnt(1)
	v_mul_f64 v[0:1], v[90:91], v[130:131]
	v_mul_f64 v[18:19], v[86:87], s[34:35]
	;; [unrolled: 1-line block ×4, first 2 shown]
	s_delay_alu instid0(VALU_DEP_4) | instskip(SKIP_2) | instid1(VALU_DEP_2)
	v_fma_f64 v[44:45], v[88:89], v[128:129], v[0:1]
	v_mul_f64 v[0:1], v[90:91], v[128:129]
	v_add_f64 v[90:91], v[64:65], -v[58:59]
	v_fma_f64 v[66:67], v[88:89], v[130:131], -v[0:1]
	s_waitcnt lgkmcnt(0)
	v_mul_f64 v[0:1], v[82:83], v[126:127]
	v_add_f64 v[88:89], v[74:75], -v[116:117]
	s_delay_alu instid0(VALU_DEP_4)
	v_mul_f64 v[100:101], v[90:91], s[34:35]
	v_mul_f64 v[185:186], v[90:91], s[36:37]
	v_add_f64 v[98:99], v[84:85], -v[66:67]
	v_fma_f64 v[46:47], v[80:81], v[124:125], v[0:1]
	v_mul_f64 v[0:1], v[82:83], v[124:125]
	v_add_f64 v[82:83], v[141:142], -v[72:73]
	v_mul_f64 v[4:5], v[88:89], s[34:35]
	v_add_f64 v[159:160], v[84:85], v[66:67]
	v_mul_f64 v[179:180], v[88:89], s[24:25]
	v_mul_f64 v[16:17], v[98:99], s[34:35]
	v_add_f64 v[12:13], v[108:109], -v[46:47]
	v_fma_f64 v[70:71], v[80:81], v[126:127], -v[0:1]
	v_add_f64 v[0:1], v[78:79], -v[44:45]
	v_add_f64 v[80:81], v[60:61], -v[50:51]
	v_mul_f64 v[2:3], v[82:83], s[34:35]
	v_add_f64 v[132:133], v[108:109], v[46:47]
	v_mul_f64 v[175:176], v[82:83], s[24:25]
	v_mul_f64 v[191:192], v[98:99], s[18:19]
	;; [unrolled: 1-line block ×7, first 2 shown]
	s_mov_b32 s35, 0xbfddbe06
	v_mul_f64 v[24:25], v[12:13], s[20:21]
	v_mul_f64 v[26:27], v[12:13], s[28:29]
	;; [unrolled: 1-line block ×4, first 2 shown]
	v_add_f64 v[30:31], v[110:111], v[70:71]
	v_mul_f64 v[189:190], v[80:81], s[24:25]
	v_mul_f64 v[199:200], v[80:81], s[30:31]
	s_delay_alu instid0(VALU_DEP_3)
	v_fma_f64 v[32:33], v[30:31], s[14:15], v[14:15]
	v_fma_f64 v[14:15], v[30:31], s[14:15], -v[14:15]
	v_fma_f64 v[34:35], v[30:31], s[8:9], v[22:23]
	v_fma_f64 v[22:23], v[30:31], s[8:9], -v[22:23]
	;; [unrolled: 2-line block ×6, first 2 shown]
	v_add_f64 v[30:31], v[110:111], -v[70:71]
	v_add_f64 v[32:33], v[42:43], v[32:33]
	v_add_f64 v[34:35], v[42:43], v[34:35]
	;; [unrolled: 1-line block ×10, first 2 shown]
	v_mul_f64 v[122:123], v[30:31], s[18:19]
	v_mul_f64 v[124:125], v[30:31], s[16:17]
	;; [unrolled: 1-line block ×6, first 2 shown]
	v_fma_f64 v[12:13], v[159:160], s[22:23], v[8:9]
	v_fma_f64 v[8:9], v[159:160], s[22:23], -v[8:9]
	s_mov_b32 s35, 0x3fcea1e5
	s_mov_b32 s34, s18
	v_fma_f64 v[134:135], v[132:133], s[14:15], -v[122:123]
	v_fma_f64 v[122:123], v[132:133], s[14:15], v[122:123]
	v_fma_f64 v[136:137], v[132:133], s[8:9], -v[124:125]
	v_fma_f64 v[124:125], v[132:133], s[8:9], v[124:125]
	;; [unrolled: 2-line block ×5, first 2 shown]
	v_fma_f64 v[147:148], v[132:133], s[22:23], v[30:31]
	v_fma_f64 v[30:31], v[132:133], s[22:23], -v[30:31]
	v_add_f64 v[132:133], v[42:43], v[110:111]
	v_add_f64 v[110:111], v[42:43], v[14:15]
	;; [unrolled: 1-line block ×16, first 2 shown]
	v_mul_f64 v[40:41], v[96:97], s[16:17]
	v_add_f64 v[136:137], v[42:43], v[106:107]
	v_add_f64 v[8:9], v[8:9], v[110:111]
	v_fma_f64 v[14:15], v[32:33], s[22:23], -v[16:17]
	v_fma_f64 v[16:17], v[32:33], s[22:23], v[16:17]
	v_mul_f64 v[110:111], v[96:97], s[30:31]
	v_fma_f64 v[42:43], v[161:162], s[8:9], v[40:41]
	v_fma_f64 v[40:41], v[161:162], s[8:9], -v[40:41]
	v_add_f64 v[14:15], v[14:15], v[108:109]
	v_add_f64 v[16:17], v[16:17], v[122:123]
	v_mul_f64 v[122:123], v[90:91], s[34:35]
	v_add_f64 v[12:13], v[42:43], v[12:13]
	v_mul_f64 v[42:43], v[94:95], s[16:17]
	v_add_f64 v[8:9], v[40:41], v[8:9]
	s_delay_alu instid0(VALU_DEP_2) | instskip(SKIP_1) | instid1(VALU_DEP_2)
	v_fma_f64 v[106:107], v[163:164], s[8:9], -v[42:43]
	v_fma_f64 v[40:41], v[163:164], s[8:9], v[42:43]
	v_add_f64 v[14:15], v[106:107], v[14:15]
	v_mul_f64 v[106:107], v[92:93], s[26:27]
	s_delay_alu instid0(VALU_DEP_3) | instskip(NEXT) | instid1(VALU_DEP_2)
	v_add_f64 v[16:17], v[40:41], v[16:17]
	v_fma_f64 v[108:109], v[165:166], s[12:13], v[106:107]
	v_fma_f64 v[40:41], v[165:166], s[12:13], -v[106:107]
	v_fma_f64 v[106:107], v[177:178], s[10:11], v[179:180]
	s_delay_alu instid0(VALU_DEP_3) | instskip(SKIP_1) | instid1(VALU_DEP_4)
	v_add_f64 v[12:13], v[108:109], v[12:13]
	v_mul_f64 v[108:109], v[90:91], s[26:27]
	v_add_f64 v[8:9], v[40:41], v[8:9]
	s_delay_alu instid0(VALU_DEP_2) | instskip(SKIP_2) | instid1(VALU_DEP_3)
	v_fma_f64 v[112:113], v[167:168], s[12:13], -v[108:109]
	v_fma_f64 v[40:41], v[167:168], s[12:13], v[108:109]
	v_fma_f64 v[108:109], v[161:162], s[12:13], v[110:111]
	v_add_f64 v[14:15], v[112:113], v[14:15]
	v_mul_f64 v[112:113], v[86:87], s[20:21]
	s_delay_alu instid0(VALU_DEP_4) | instskip(NEXT) | instid1(VALU_DEP_2)
	v_add_f64 v[16:17], v[40:41], v[16:17]
	v_fma_f64 v[120:121], v[169:170], s[0:1], v[112:113]
	v_fma_f64 v[40:41], v[169:170], s[0:1], -v[112:113]
	v_mul_f64 v[112:113], v[94:95], s[30:31]
	s_delay_alu instid0(VALU_DEP_3) | instskip(SKIP_1) | instid1(VALU_DEP_4)
	v_add_f64 v[12:13], v[120:121], v[12:13]
	v_mul_f64 v[120:121], v[80:81], s[20:21]
	v_add_f64 v[8:9], v[40:41], v[8:9]
	s_delay_alu instid0(VALU_DEP_2) | instskip(SKIP_2) | instid1(VALU_DEP_3)
	v_fma_f64 v[40:41], v[171:172], s[0:1], v[120:121]
	v_fma_f64 v[130:131], v[171:172], s[0:1], -v[120:121]
	v_mul_f64 v[120:121], v[92:93], s[34:35]
	v_add_f64 v[16:17], v[40:41], v[16:17]
	v_fma_f64 v[40:41], v[173:174], s[10:11], -v[175:176]
	s_delay_alu instid0(VALU_DEP_4) | instskip(SKIP_2) | instid1(VALU_DEP_4)
	v_add_f64 v[130:131], v[130:131], v[14:15]
	v_fma_f64 v[14:15], v[173:174], s[10:11], v[175:176]
	v_mul_f64 v[175:176], v[98:99], s[20:21]
	v_add_f64 v[42:43], v[40:41], v[8:9]
	v_mul_f64 v[8:9], v[0:1], s[24:25]
	v_add_f64 v[40:41], v[106:107], v[16:17]
	v_add_f64 v[14:15], v[14:15], v[12:13]
	v_fma_f64 v[12:13], v[177:178], s[10:11], -v[179:180]
	v_mul_f64 v[179:180], v[96:97], s[18:19]
	v_fma_f64 v[16:17], v[159:160], s[10:11], v[8:9]
	v_fma_f64 v[8:9], v[159:160], s[10:11], -v[8:9]
	s_delay_alu instid0(VALU_DEP_4) | instskip(SKIP_1) | instid1(VALU_DEP_4)
	v_add_f64 v[12:13], v[12:13], v[130:131]
	v_mul_f64 v[130:131], v[82:83], s[20:21]
	v_add_f64 v[16:17], v[16:17], v[34:35]
	v_mul_f64 v[34:35], v[98:99], s[24:25]
	v_add_f64 v[8:9], v[8:9], v[22:23]
	s_mov_b32 s25, 0x3fedeba7
	s_mov_b32 s24, s20
	s_delay_alu instid0(SALU_CYCLE_1)
	v_mul_f64 v[193:194], v[96:97], s[24:25]
	v_mul_f64 v[195:196], v[94:95], s[24:25]
	v_add_f64 v[16:17], v[108:109], v[16:17]
	v_fma_f64 v[106:107], v[32:33], s[10:11], -v[34:35]
	v_fma_f64 v[108:109], v[163:164], s[12:13], -v[112:113]
	v_fma_f64 v[22:23], v[32:33], s[10:11], v[34:35]
	v_fma_f64 v[34:35], v[161:162], s[12:13], -v[110:111]
	s_delay_alu instid0(VALU_DEP_4) | instskip(NEXT) | instid1(VALU_DEP_3)
	v_add_f64 v[106:107], v[106:107], v[134:135]
	v_add_f64 v[22:23], v[22:23], v[124:125]
	s_delay_alu instid0(VALU_DEP_3) | instskip(SKIP_1) | instid1(VALU_DEP_4)
	v_add_f64 v[8:9], v[34:35], v[8:9]
	v_fma_f64 v[34:35], v[163:164], s[12:13], v[112:113]
	v_add_f64 v[106:107], v[108:109], v[106:107]
	v_fma_f64 v[108:109], v[165:166], s[14:15], v[120:121]
	s_delay_alu instid0(VALU_DEP_3) | instskip(SKIP_1) | instid1(VALU_DEP_3)
	v_add_f64 v[22:23], v[34:35], v[22:23]
	v_fma_f64 v[34:35], v[165:166], s[14:15], -v[120:121]
	v_add_f64 v[16:17], v[108:109], v[16:17]
	v_fma_f64 v[108:109], v[167:168], s[14:15], -v[122:123]
	s_delay_alu instid0(VALU_DEP_3) | instskip(SKIP_1) | instid1(VALU_DEP_3)
	v_add_f64 v[8:9], v[34:35], v[8:9]
	v_fma_f64 v[34:35], v[167:168], s[14:15], v[122:123]
	v_add_f64 v[106:107], v[108:109], v[106:107]
	v_fma_f64 v[108:109], v[169:170], s[22:23], v[18:19]
	v_fma_f64 v[18:19], v[169:170], s[22:23], -v[18:19]
	s_delay_alu instid0(VALU_DEP_4) | instskip(NEXT) | instid1(VALU_DEP_3)
	v_add_f64 v[22:23], v[34:35], v[22:23]
	v_add_f64 v[16:17], v[108:109], v[16:17]
	v_fma_f64 v[108:109], v[171:172], s[22:23], -v[20:21]
	s_delay_alu instid0(VALU_DEP_4) | instskip(SKIP_2) | instid1(VALU_DEP_4)
	v_add_f64 v[8:9], v[18:19], v[8:9]
	v_fma_f64 v[18:19], v[171:172], s[22:23], v[20:21]
	v_fma_f64 v[20:21], v[173:174], s[0:1], -v[130:131]
	v_add_f64 v[106:107], v[108:109], v[106:107]
	v_fma_f64 v[108:109], v[173:174], s[0:1], v[130:131]
	s_delay_alu instid0(VALU_DEP_4) | instskip(NEXT) | instid1(VALU_DEP_4)
	v_add_f64 v[18:19], v[18:19], v[22:23]
	v_add_f64 v[112:113], v[20:21], v[8:9]
	v_mul_f64 v[8:9], v[0:1], s[36:37]
	v_fma_f64 v[22:23], v[161:162], s[22:23], v[102:103]
	v_add_f64 v[108:109], v[108:109], v[16:17]
	v_mul_f64 v[16:17], v[88:89], s[20:21]
	s_delay_alu instid0(VALU_DEP_1) | instskip(SKIP_1) | instid1(VALU_DEP_2)
	v_fma_f64 v[134:135], v[177:178], s[0:1], -v[16:17]
	v_fma_f64 v[16:17], v[177:178], s[0:1], v[16:17]
	v_add_f64 v[106:107], v[134:135], v[106:107]
	s_delay_alu instid0(VALU_DEP_2) | instskip(SKIP_4) | instid1(VALU_DEP_4)
	v_add_f64 v[110:111], v[16:17], v[18:19]
	v_fma_f64 v[16:17], v[159:160], s[8:9], v[8:9]
	v_mul_f64 v[18:19], v[98:99], s[36:37]
	v_mul_f64 v[134:135], v[86:87], s[34:35]
	v_fma_f64 v[8:9], v[159:160], s[8:9], -v[8:9]
	v_add_f64 v[16:17], v[16:17], v[136:137]
	s_delay_alu instid0(VALU_DEP_4) | instskip(SKIP_1) | instid1(VALU_DEP_4)
	v_fma_f64 v[20:21], v[32:33], s[8:9], -v[18:19]
	v_mul_f64 v[136:137], v[80:81], s[34:35]
	v_add_f64 v[8:9], v[8:9], v[24:25]
	v_fma_f64 v[18:19], v[32:33], s[8:9], v[18:19]
	v_fma_f64 v[24:25], v[161:162], s[22:23], -v[102:103]
	v_add_f64 v[16:17], v[22:23], v[16:17]
	v_add_f64 v[20:21], v[20:21], v[138:139]
	v_fma_f64 v[22:23], v[163:164], s[22:23], -v[104:105]
	v_mul_f64 v[138:139], v[82:83], s[26:27]
	v_add_f64 v[18:19], v[18:19], v[151:152]
	v_add_f64 v[8:9], v[24:25], v[8:9]
	v_fma_f64 v[24:25], v[163:164], s[22:23], v[104:105]
	v_add_f64 v[20:21], v[22:23], v[20:21]
	v_mul_f64 v[22:23], v[92:93], s[28:29]
	s_delay_alu instid0(VALU_DEP_3) | instskip(NEXT) | instid1(VALU_DEP_2)
	v_add_f64 v[18:19], v[24:25], v[18:19]
	v_fma_f64 v[34:35], v[165:166], s[10:11], v[22:23]
	v_fma_f64 v[22:23], v[165:166], s[10:11], -v[22:23]
	s_delay_alu instid0(VALU_DEP_2) | instskip(SKIP_1) | instid1(VALU_DEP_3)
	v_add_f64 v[16:17], v[34:35], v[16:17]
	v_mul_f64 v[34:35], v[90:91], s[28:29]
	v_add_f64 v[8:9], v[22:23], v[8:9]
	s_delay_alu instid0(VALU_DEP_2) | instskip(SKIP_1) | instid1(VALU_DEP_2)
	v_fma_f64 v[120:121], v[167:168], s[10:11], -v[34:35]
	v_fma_f64 v[22:23], v[167:168], s[10:11], v[34:35]
	v_add_f64 v[20:21], v[120:121], v[20:21]
	v_fma_f64 v[120:121], v[169:170], s[14:15], v[134:135]
	s_delay_alu instid0(VALU_DEP_3) | instskip(SKIP_1) | instid1(VALU_DEP_3)
	v_add_f64 v[18:19], v[22:23], v[18:19]
	v_fma_f64 v[22:23], v[169:170], s[14:15], -v[134:135]
	v_add_f64 v[16:17], v[120:121], v[16:17]
	v_fma_f64 v[120:121], v[171:172], s[14:15], -v[136:137]
	s_delay_alu instid0(VALU_DEP_3) | instskip(SKIP_1) | instid1(VALU_DEP_3)
	v_add_f64 v[8:9], v[22:23], v[8:9]
	v_fma_f64 v[22:23], v[171:172], s[14:15], v[136:137]
	v_add_f64 v[20:21], v[120:121], v[20:21]
	v_fma_f64 v[120:121], v[173:174], s[12:13], v[138:139]
	s_delay_alu instid0(VALU_DEP_3) | instskip(SKIP_1) | instid1(VALU_DEP_3)
	v_add_f64 v[18:19], v[22:23], v[18:19]
	v_fma_f64 v[22:23], v[173:174], s[12:13], -v[138:139]
	v_add_f64 v[122:123], v[120:121], v[16:17]
	v_mul_f64 v[16:17], v[88:89], s[26:27]
	s_delay_alu instid0(VALU_DEP_3) | instskip(SKIP_1) | instid1(VALU_DEP_3)
	v_add_f64 v[104:105], v[22:23], v[8:9]
	v_mul_f64 v[22:23], v[96:97], s[28:29]
	v_fma_f64 v[120:121], v[177:178], s[12:13], -v[16:17]
	v_fma_f64 v[16:17], v[177:178], s[12:13], v[16:17]
	s_delay_alu instid0(VALU_DEP_3) | instskip(NEXT) | instid1(VALU_DEP_3)
	v_fma_f64 v[24:25], v[161:162], s[10:11], -v[22:23]
	v_add_f64 v[120:121], v[120:121], v[20:21]
	v_mul_f64 v[20:21], v[0:1], s[20:21]
	s_delay_alu instid0(VALU_DEP_4) | instskip(SKIP_2) | instid1(VALU_DEP_4)
	v_add_f64 v[102:103], v[16:17], v[18:19]
	v_fma_f64 v[16:17], v[32:33], s[14:15], -v[191:192]
	v_fma_f64 v[18:19], v[161:162], s[0:1], v[193:194]
	v_fma_f64 v[124:125], v[159:160], s[0:1], -v[20:21]
	s_delay_alu instid0(VALU_DEP_3) | instskip(NEXT) | instid1(VALU_DEP_2)
	v_add_f64 v[16:17], v[16:17], v[143:144]
	v_add_f64 v[28:29], v[124:125], v[28:29]
	v_fma_f64 v[124:125], v[32:33], s[0:1], v[175:176]
	s_delay_alu instid0(VALU_DEP_1) | instskip(SKIP_1) | instid1(VALU_DEP_1)
	v_add_f64 v[124:125], v[124:125], v[126:127]
	v_fma_f64 v[126:127], v[161:162], s[14:15], -v[179:180]
	v_add_f64 v[28:29], v[126:127], v[28:29]
	v_fma_f64 v[126:127], v[163:164], s[14:15], v[181:182]
	s_delay_alu instid0(VALU_DEP_1) | instskip(SKIP_1) | instid1(VALU_DEP_1)
	v_add_f64 v[124:125], v[126:127], v[124:125]
	v_fma_f64 v[126:127], v[165:166], s[8:9], -v[183:184]
	;; [unrolled: 5-line block ×3, first 2 shown]
	v_add_f64 v[28:29], v[126:127], v[28:29]
	v_fma_f64 v[126:127], v[171:172], s[10:11], v[189:190]
	s_delay_alu instid0(VALU_DEP_1) | instskip(SKIP_2) | instid1(VALU_DEP_2)
	v_add_f64 v[124:125], v[126:127], v[124:125]
	v_fma_f64 v[126:127], v[173:174], s[22:23], -v[2:3]
	v_fma_f64 v[2:3], v[173:174], s[22:23], v[2:3]
	v_add_f64 v[126:127], v[126:127], v[28:29]
	v_fma_f64 v[28:29], v[177:178], s[22:23], v[4:5]
	s_delay_alu instid0(VALU_DEP_1) | instskip(SKIP_2) | instid1(VALU_DEP_2)
	v_add_f64 v[124:125], v[28:29], v[124:125]
	v_mul_f64 v[28:29], v[0:1], s[18:19]
	v_mul_f64 v[0:1], v[0:1], s[30:31]
	v_fma_f64 v[130:131], v[159:160], s[14:15], -v[28:29]
	v_fma_f64 v[8:9], v[159:160], s[14:15], v[28:29]
	s_delay_alu instid0(VALU_DEP_2) | instskip(SKIP_1) | instid1(VALU_DEP_3)
	v_add_f64 v[26:27], v[130:131], v[26:27]
	v_fma_f64 v[130:131], v[32:33], s[14:15], v[191:192]
	v_add_f64 v[8:9], v[8:9], v[153:154]
	s_delay_alu instid0(VALU_DEP_2) | instskip(SKIP_1) | instid1(VALU_DEP_3)
	v_add_f64 v[128:129], v[130:131], v[128:129]
	v_fma_f64 v[130:131], v[161:162], s[0:1], -v[193:194]
	v_add_f64 v[8:9], v[18:19], v[8:9]
	v_fma_f64 v[18:19], v[163:164], s[0:1], -v[195:196]
	s_delay_alu instid0(VALU_DEP_3) | instskip(SKIP_1) | instid1(VALU_DEP_3)
	v_add_f64 v[26:27], v[130:131], v[26:27]
	v_fma_f64 v[130:131], v[163:164], s[0:1], v[195:196]
	v_add_f64 v[16:17], v[18:19], v[16:17]
	s_delay_alu instid0(VALU_DEP_2) | instskip(SKIP_2) | instid1(VALU_DEP_2)
	v_add_f64 v[128:129], v[130:131], v[128:129]
	v_fma_f64 v[130:131], v[165:166], s[22:23], -v[6:7]
	v_fma_f64 v[6:7], v[165:166], s[22:23], v[6:7]
	v_add_f64 v[26:27], v[130:131], v[26:27]
	v_fma_f64 v[130:131], v[167:168], s[22:23], v[100:101]
	s_delay_alu instid0(VALU_DEP_3) | instskip(SKIP_1) | instid1(VALU_DEP_3)
	v_add_f64 v[6:7], v[6:7], v[8:9]
	v_fma_f64 v[8:9], v[167:168], s[22:23], -v[100:101]
	v_add_f64 v[128:129], v[130:131], v[128:129]
	v_fma_f64 v[130:131], v[169:170], s[12:13], -v[197:198]
	s_delay_alu instid0(VALU_DEP_3) | instskip(SKIP_1) | instid1(VALU_DEP_3)
	v_add_f64 v[8:9], v[8:9], v[16:17]
	v_fma_f64 v[16:17], v[169:170], s[12:13], v[197:198]
	v_add_f64 v[26:27], v[130:131], v[26:27]
	v_fma_f64 v[130:131], v[171:172], s[12:13], v[199:200]
	s_delay_alu instid0(VALU_DEP_3) | instskip(SKIP_1) | instid1(VALU_DEP_3)
	v_add_f64 v[6:7], v[16:17], v[6:7]
	v_fma_f64 v[16:17], v[171:172], s[12:13], -v[199:200]
	v_add_f64 v[128:129], v[130:131], v[128:129]
	v_fma_f64 v[130:131], v[173:174], s[8:9], -v[201:202]
	s_delay_alu instid0(VALU_DEP_3) | instskip(SKIP_1) | instid1(VALU_DEP_3)
	v_add_f64 v[16:17], v[16:17], v[8:9]
	v_fma_f64 v[8:9], v[173:174], s[8:9], v[201:202]
	v_add_f64 v[130:131], v[130:131], v[26:27]
	v_mul_f64 v[26:27], v[88:89], s[16:17]
	s_delay_alu instid0(VALU_DEP_3) | instskip(SKIP_1) | instid1(VALU_DEP_3)
	v_add_f64 v[8:9], v[8:9], v[6:7]
	v_mul_f64 v[88:89], v[88:89], s[18:19]
	v_fma_f64 v[18:19], v[177:178], s[8:9], -v[26:27]
	v_fma_f64 v[203:204], v[177:178], s[8:9], v[26:27]
	s_delay_alu instid0(VALU_DEP_2) | instskip(SKIP_4) | instid1(VALU_DEP_4)
	v_add_f64 v[6:7], v[18:19], v[16:17]
	v_fma_f64 v[16:17], v[159:160], s[0:1], v[20:21]
	v_fma_f64 v[18:19], v[32:33], s[0:1], -v[175:176]
	v_fma_f64 v[20:21], v[161:162], s[14:15], v[179:180]
	v_add_f64 v[128:129], v[203:204], v[128:129]
	v_add_f64 v[16:17], v[16:17], v[114:115]
	s_delay_alu instid0(VALU_DEP_4) | instskip(NEXT) | instid1(VALU_DEP_2)
	v_add_f64 v[18:19], v[18:19], v[145:146]
	v_add_f64 v[16:17], v[20:21], v[16:17]
	v_fma_f64 v[20:21], v[163:164], s[14:15], -v[181:182]
	s_delay_alu instid0(VALU_DEP_1) | instskip(SKIP_1) | instid1(VALU_DEP_1)
	v_add_f64 v[18:19], v[20:21], v[18:19]
	v_fma_f64 v[20:21], v[165:166], s[8:9], v[183:184]
	v_add_f64 v[16:17], v[20:21], v[16:17]
	v_fma_f64 v[20:21], v[167:168], s[8:9], -v[185:186]
	s_delay_alu instid0(VALU_DEP_1) | instskip(SKIP_1) | instid1(VALU_DEP_1)
	v_add_f64 v[18:19], v[20:21], v[18:19]
	v_fma_f64 v[20:21], v[169:170], s[10:11], v[187:188]
	v_add_f64 v[16:17], v[20:21], v[16:17]
	v_fma_f64 v[20:21], v[171:172], s[10:11], -v[189:190]
	s_delay_alu instid0(VALU_DEP_1) | instskip(SKIP_1) | instid1(VALU_DEP_4)
	v_add_f64 v[18:19], v[20:21], v[18:19]
	v_fma_f64 v[20:21], v[177:178], s[22:23], -v[4:5]
	v_add_f64 v[4:5], v[2:3], v[16:17]
	v_fma_f64 v[16:17], v[159:160], s[12:13], -v[0:1]
	v_fma_f64 v[0:1], v[159:160], s[12:13], v[0:1]
	s_delay_alu instid0(VALU_DEP_4) | instskip(SKIP_1) | instid1(VALU_DEP_4)
	v_add_f64 v[2:3], v[20:21], v[18:19]
	v_mul_f64 v[18:19], v[98:99], s[30:31]
	v_add_f64 v[16:17], v[16:17], v[157:158]
	s_delay_alu instid0(VALU_DEP_4) | instskip(NEXT) | instid1(VALU_DEP_3)
	v_add_f64 v[0:1], v[0:1], v[155:156]
	v_fma_f64 v[20:21], v[32:33], s[12:13], v[18:19]
	s_delay_alu instid0(VALU_DEP_3) | instskip(SKIP_1) | instid1(VALU_DEP_3)
	v_add_f64 v[16:17], v[24:25], v[16:17]
	v_mul_f64 v[24:25], v[94:95], s[28:29]
	v_add_f64 v[20:21], v[20:21], v[147:148]
	s_delay_alu instid0(VALU_DEP_2) | instskip(NEXT) | instid1(VALU_DEP_1)
	v_fma_f64 v[26:27], v[163:164], s[10:11], v[24:25]
	v_add_f64 v[20:21], v[26:27], v[20:21]
	v_mul_f64 v[26:27], v[92:93], s[20:21]
	s_delay_alu instid0(VALU_DEP_1) | instskip(NEXT) | instid1(VALU_DEP_1)
	v_fma_f64 v[28:29], v[165:166], s[0:1], -v[26:27]
	v_add_f64 v[16:17], v[28:29], v[16:17]
	v_mul_f64 v[28:29], v[90:91], s[20:21]
	v_mul_f64 v[90:91], v[82:83], s[18:19]
	s_delay_alu instid0(VALU_DEP_2) | instskip(NEXT) | instid1(VALU_DEP_1)
	v_fma_f64 v[34:35], v[167:168], s[0:1], v[28:29]
	v_add_f64 v[20:21], v[34:35], v[20:21]
	v_mul_f64 v[34:35], v[86:87], s[16:17]
	s_delay_alu instid0(VALU_DEP_1) | instskip(NEXT) | instid1(VALU_DEP_1)
	v_fma_f64 v[86:87], v[169:170], s[8:9], -v[34:35]
	v_add_f64 v[16:17], v[86:87], v[16:17]
	v_mul_f64 v[86:87], v[80:81], s[16:17]
	s_delay_alu instid0(VALU_DEP_1) | instskip(NEXT) | instid1(VALU_DEP_1)
	v_fma_f64 v[80:81], v[171:172], s[8:9], v[86:87]
	v_add_f64 v[20:21], v[80:81], v[20:21]
	v_fma_f64 v[80:81], v[173:174], s[14:15], -v[90:91]
	s_delay_alu instid0(VALU_DEP_1) | instskip(SKIP_1) | instid1(VALU_DEP_1)
	v_add_f64 v[82:83], v[80:81], v[16:17]
	v_fma_f64 v[16:17], v[177:178], s[14:15], v[88:89]
	v_add_f64 v[80:81], v[16:17], v[20:21]
	v_add_f64 v[16:17], v[132:133], v[84:85]
	;; [unrolled: 1-line block ×3, first 2 shown]
	s_delay_alu instid0(VALU_DEP_2) | instskip(NEXT) | instid1(VALU_DEP_2)
	v_add_f64 v[16:17], v[16:17], v[76:77]
	v_add_f64 v[20:21], v[20:21], v[68:69]
	s_delay_alu instid0(VALU_DEP_2) | instskip(NEXT) | instid1(VALU_DEP_2)
	v_add_f64 v[16:17], v[16:17], v[64:65]
	v_add_f64 v[20:21], v[20:21], v[62:63]
	s_delay_alu instid0(VALU_DEP_2) | instskip(NEXT) | instid1(VALU_DEP_2)
	v_add_f64 v[16:17], v[16:17], v[60:61]
	v_add_f64 v[20:21], v[20:21], v[118:119]
	s_delay_alu instid0(VALU_DEP_2) | instskip(NEXT) | instid1(VALU_DEP_2)
	v_add_f64 v[16:17], v[16:17], v[74:75]
	v_add_f64 v[20:21], v[20:21], v[141:142]
	s_delay_alu instid0(VALU_DEP_2) | instskip(NEXT) | instid1(VALU_DEP_2)
	v_add_f64 v[16:17], v[16:17], v[116:117]
	v_add_f64 v[20:21], v[20:21], v[72:73]
	s_delay_alu instid0(VALU_DEP_2) | instskip(NEXT) | instid1(VALU_DEP_2)
	v_add_f64 v[16:17], v[16:17], v[50:51]
	v_add_f64 v[20:21], v[20:21], v[48:49]
	s_delay_alu instid0(VALU_DEP_2) | instskip(NEXT) | instid1(VALU_DEP_2)
	v_add_f64 v[16:17], v[16:17], v[58:59]
	v_add_f64 v[20:21], v[20:21], v[56:57]
	s_delay_alu instid0(VALU_DEP_2) | instskip(NEXT) | instid1(VALU_DEP_2)
	v_add_f64 v[16:17], v[16:17], v[54:55]
	v_add_f64 v[20:21], v[20:21], v[52:53]
	s_delay_alu instid0(VALU_DEP_2) | instskip(NEXT) | instid1(VALU_DEP_2)
	v_add_f64 v[16:17], v[16:17], v[66:67]
	v_add_f64 v[20:21], v[20:21], v[44:45]
	s_delay_alu instid0(VALU_DEP_2) | instskip(SKIP_1) | instid1(VALU_DEP_3)
	v_add_f64 v[48:49], v[16:17], v[70:71]
	v_fma_f64 v[16:17], v[32:33], s[12:13], -v[18:19]
	v_add_f64 v[46:47], v[20:21], v[46:47]
	v_fma_f64 v[18:19], v[161:162], s[10:11], v[22:23]
	v_fma_f64 v[20:21], v[163:164], s[10:11], -v[24:25]
	v_fma_f64 v[22:23], v[165:166], s[0:1], v[26:27]
	v_fma_f64 v[24:25], v[167:168], s[0:1], -v[28:29]
	v_add_f64 v[16:17], v[16:17], v[30:31]
	v_add_f64 v[0:1], v[18:19], v[0:1]
	v_fma_f64 v[18:19], v[169:170], s[8:9], v[34:35]
	s_delay_alu instid0(VALU_DEP_3) | instskip(SKIP_1) | instid1(VALU_DEP_4)
	v_add_f64 v[16:17], v[20:21], v[16:17]
	v_fma_f64 v[20:21], v[171:172], s[8:9], -v[86:87]
	v_add_f64 v[0:1], v[22:23], v[0:1]
	v_fma_f64 v[22:23], v[173:174], s[14:15], v[90:91]
	s_delay_alu instid0(VALU_DEP_4) | instskip(SKIP_1) | instid1(VALU_DEP_4)
	v_add_f64 v[16:17], v[24:25], v[16:17]
	v_fma_f64 v[24:25], v[177:178], s[14:15], -v[88:89]
	v_add_f64 v[0:1], v[18:19], v[0:1]
	s_delay_alu instid0(VALU_DEP_3) | instskip(NEXT) | instid1(VALU_DEP_2)
	v_add_f64 v[16:17], v[20:21], v[16:17]
	v_add_f64 v[52:53], v[22:23], v[0:1]
	s_delay_alu instid0(VALU_DEP_2)
	v_add_f64 v[50:51], v[24:25], v[16:17]
	ds_store_b128 v11, v[124:127] offset:3200
	ds_store_b128 v11, v[128:131] offset:4800
	;; [unrolled: 1-line block ×11, first 2 shown]
	ds_store_b128 v11, v[46:49]
	ds_store_b128 v11, v[50:53] offset:19200
.LBB0_9:
	s_or_b32 exec_lo, exec_lo, s33
	s_waitcnt vmcnt(0) lgkmcnt(0)
	s_barrier
	buffer_gl0_inv
	ds_load_b128 v[0:3], v11
	ds_load_b128 v[4:7], v11 offset:2080
	ds_load_b128 v[12:15], v11 offset:4160
	;; [unrolled: 1-line block ×3, first 2 shown]
	scratch_load_b64 v[8:9], off, off       ; 8-byte Folded Reload
	ds_load_b128 v[44:47], v11 offset:8320
	ds_load_b128 v[48:51], v11 offset:10400
	v_mad_u64_u32 v[18:19], null, s4, v140, 0
	s_mul_i32 s0, s5, 0x820
	s_mul_hi_u32 s1, s4, 0x820
	s_waitcnt vmcnt(0)
	v_mov_b32_e32 v88, v8
	ds_load_b128 v[52:55], v11 offset:12480
	ds_load_b128 v[56:59], v11 offset:14560
	;; [unrolled: 1-line block ×4, first 2 shown]
	s_clause 0x2
	scratch_load_b128 v[89:92], off, off offset:12
	scratch_load_b128 v[101:104], off, off offset:92
	;; [unrolled: 1-line block ×3, first 2 shown]
	v_mad_u64_u32 v[16:17], null, s6, v88, 0
	s_delay_alu instid0(VALU_DEP_1) | instskip(NEXT) | instid1(VALU_DEP_1)
	v_mad_u64_u32 v[86:87], null, s7, v88, v[17:18]
	v_mov_b32_e32 v17, v86
	s_delay_alu instid0(VALU_DEP_1)
	v_lshlrev_b64 v[16:17], 4, v[16:17]
	s_waitcnt vmcnt(2) lgkmcnt(9)
	v_mul_f64 v[20:21], v[91:92], v[2:3]
	v_mul_f64 v[22:23], v[91:92], v[0:1]
	scratch_load_b128 v[91:94], off, off offset:28 ; 16-byte Folded Reload
	s_waitcnt vmcnt(2) lgkmcnt(7)
	v_mul_f64 v[28:29], v[103:104], v[14:15]
	v_mul_f64 v[30:31], v[103:104], v[12:13]
	scratch_load_b128 v[103:106], off, off offset:108 ; 16-byte Folded Reload
	s_waitcnt vmcnt(2) lgkmcnt(0)
	v_mul_f64 v[84:85], v[38:39], v[10:11]
	v_mul_f64 v[38:39], v[38:39], v[8:9]
	v_fma_f64 v[0:1], v[89:90], v[0:1], v[20:21]
	v_fma_f64 v[2:3], v[89:90], v[2:3], -v[22:23]
	v_mad_u64_u32 v[87:88], null, s5, v140, v[19:20]
	v_fma_f64 v[12:13], v[101:102], v[12:13], v[28:29]
	v_fma_f64 v[14:15], v[101:102], v[14:15], -v[30:31]
	v_fma_f64 v[38:39], v[36:37], v[10:11], -v[38:39]
	s_delay_alu instid0(VALU_DEP_4) | instskip(NEXT) | instid1(VALU_DEP_1)
	v_mov_b32_e32 v19, v87
	v_lshlrev_b64 v[18:19], 4, v[18:19]
	s_waitcnt vmcnt(1)
	v_mul_f64 v[24:25], v[93:94], v[6:7]
	v_mul_f64 v[26:27], v[93:94], v[4:5]
	scratch_load_b128 v[93:96], off, off offset:44 ; 16-byte Folded Reload
	s_waitcnt vmcnt(1)
	v_mul_f64 v[64:65], v[105:106], v[46:47]
	v_mul_f64 v[66:67], v[105:106], v[44:45]
	scratch_load_b128 v[105:108], off, off offset:124 ; 16-byte Folded Reload
	v_fma_f64 v[4:5], v[91:92], v[4:5], v[24:25]
	v_fma_f64 v[6:7], v[91:92], v[6:7], -v[26:27]
	v_fma_f64 v[24:25], v[103:104], v[44:45], v[64:65]
	v_fma_f64 v[26:27], v[103:104], v[46:47], -v[66:67]
	s_waitcnt vmcnt(1)
	v_mul_f64 v[32:33], v[95:96], v[42:43]
	v_mul_f64 v[34:35], v[95:96], v[40:41]
	scratch_load_b128 v[95:98], off, off offset:60 ; 16-byte Folded Reload
	s_waitcnt vmcnt(1)
	v_mul_f64 v[72:73], v[107:108], v[54:55]
	v_mul_f64 v[74:75], v[107:108], v[52:53]
	scratch_load_b128 v[107:110], off, off offset:140 ; 16-byte Folded Reload
	v_fma_f64 v[20:21], v[93:94], v[40:41], v[32:33]
	v_fma_f64 v[22:23], v[93:94], v[42:43], -v[34:35]
	v_fma_f64 v[32:33], v[105:106], v[52:53], v[72:73]
	v_fma_f64 v[34:35], v[105:106], v[54:55], -v[74:75]
	s_waitcnt vmcnt(1)
	v_mul_f64 v[68:69], v[97:98], v[50:51]
	v_mul_f64 v[70:71], v[97:98], v[48:49]
	scratch_load_b128 v[97:100], off, off offset:76 ; 16-byte Folded Reload
	s_waitcnt vmcnt(1)
	v_mul_f64 v[80:81], v[109:110], v[62:63]
	v_mul_f64 v[82:83], v[109:110], v[60:61]
	v_fma_f64 v[28:29], v[95:96], v[48:49], v[68:69]
	v_fma_f64 v[30:31], v[95:96], v[50:51], -v[70:71]
	v_fma_f64 v[48:49], v[36:37], v[8:9], v[84:85]
	v_fma_f64 v[44:45], v[107:108], v[60:61], v[80:81]
	v_fma_f64 v[46:47], v[107:108], v[62:63], -v[82:83]
	v_add_co_u32 v8, vcc_lo, s2, v16
	s_mul_i32 s2, s4, 0x820
	v_add_co_ci_u32_e32 v9, vcc_lo, s3, v17, vcc_lo
	s_add_i32 s3, s1, s0
	s_mov_b32 s0, 0x7f9b2ce6
	s_mov_b32 s1, 0x3f4934c6
	v_add_co_u32 v50, vcc_lo, v8, v18
	v_mul_f64 v[0:1], v[0:1], s[0:1]
	v_mul_f64 v[2:3], v[2:3], s[0:1]
	;; [unrolled: 1-line block ×8, first 2 shown]
	v_add_co_ci_u32_e32 v51, vcc_lo, v9, v19, vcc_lo
	v_mul_f64 v[8:9], v[12:13], s[0:1]
	v_mul_f64 v[12:13], v[20:21], s[0:1]
	;; [unrolled: 1-line block ×4, first 2 shown]
	v_add_co_u32 v52, vcc_lo, v50, s2
	v_add_co_ci_u32_e32 v53, vcc_lo, s3, v51, vcc_lo
	v_mul_f64 v[38:39], v[38:39], s[0:1]
	s_delay_alu instid0(VALU_DEP_3) | instskip(NEXT) | instid1(VALU_DEP_3)
	v_add_co_u32 v54, vcc_lo, v52, s2
	v_add_co_ci_u32_e32 v55, vcc_lo, s3, v53, vcc_lo
	v_mul_f64 v[20:21], v[28:29], s[0:1]
	v_mul_f64 v[22:23], v[30:31], s[0:1]
	;; [unrolled: 1-line block ×5, first 2 shown]
	s_waitcnt vmcnt(0)
	v_mul_f64 v[76:77], v[99:100], v[58:59]
	v_mul_f64 v[78:79], v[99:100], v[56:57]
	s_delay_alu instid0(VALU_DEP_2) | instskip(NEXT) | instid1(VALU_DEP_2)
	v_fma_f64 v[40:41], v[97:98], v[56:57], v[76:77]
	v_fma_f64 v[42:43], v[97:98], v[58:59], -v[78:79]
	s_delay_alu instid0(VALU_DEP_2) | instskip(NEXT) | instid1(VALU_DEP_2)
	v_mul_f64 v[28:29], v[40:41], s[0:1]
	v_mul_f64 v[30:31], v[42:43], s[0:1]
	v_add_co_u32 v40, vcc_lo, v54, s2
	v_add_co_ci_u32_e32 v41, vcc_lo, s3, v55, vcc_lo
	s_clause 0x3
	global_store_b128 v[50:51], v[0:3], off
	global_store_b128 v[52:53], v[4:7], off
	global_store_b128 v[54:55], v[8:11], off
	global_store_b128 v[40:41], v[12:15], off
	v_add_co_u32 v42, vcc_lo, v40, s2
	v_add_co_ci_u32_e32 v43, vcc_lo, s3, v41, vcc_lo
	s_delay_alu instid0(VALU_DEP_2) | instskip(NEXT) | instid1(VALU_DEP_2)
	v_add_co_u32 v44, vcc_lo, v42, s2
	v_add_co_ci_u32_e32 v45, vcc_lo, s3, v43, vcc_lo
	global_store_b128 v[42:43], v[16:19], off
	v_add_co_u32 v46, vcc_lo, v44, s2
	v_add_co_ci_u32_e32 v47, vcc_lo, s3, v45, vcc_lo
	s_delay_alu instid0(VALU_DEP_2) | instskip(NEXT) | instid1(VALU_DEP_2)
	v_add_co_u32 v48, vcc_lo, v46, s2
	v_add_co_ci_u32_e32 v49, vcc_lo, s3, v47, vcc_lo
	s_delay_alu instid0(VALU_DEP_2) | instskip(NEXT) | instid1(VALU_DEP_2)
	;; [unrolled: 3-line block ×3, first 2 shown]
	v_add_co_u32 v2, vcc_lo, v0, s2
	v_add_co_ci_u32_e32 v3, vcc_lo, s3, v1, vcc_lo
	global_store_b128 v[44:45], v[20:23], off
	global_store_b128 v[46:47], v[24:27], off
	;; [unrolled: 1-line block ×5, first 2 shown]
.LBB0_10:
	s_nop 0
	s_sendmsg sendmsg(MSG_DEALLOC_VGPRS)
	s_endpgm
	.section	.rodata,"a",@progbits
	.p2align	6, 0x0
	.amdhsa_kernel bluestein_single_back_len1300_dim1_dp_op_CI_CI
		.amdhsa_group_segment_fixed_size 20800
		.amdhsa_private_segment_fixed_size 408
		.amdhsa_kernarg_size 104
		.amdhsa_user_sgpr_count 15
		.amdhsa_user_sgpr_dispatch_ptr 0
		.amdhsa_user_sgpr_queue_ptr 0
		.amdhsa_user_sgpr_kernarg_segment_ptr 1
		.amdhsa_user_sgpr_dispatch_id 0
		.amdhsa_user_sgpr_private_segment_size 0
		.amdhsa_wavefront_size32 1
		.amdhsa_uses_dynamic_stack 0
		.amdhsa_enable_private_segment 1
		.amdhsa_system_sgpr_workgroup_id_x 1
		.amdhsa_system_sgpr_workgroup_id_y 0
		.amdhsa_system_sgpr_workgroup_id_z 0
		.amdhsa_system_sgpr_workgroup_info 0
		.amdhsa_system_vgpr_workitem_id 0
		.amdhsa_next_free_vgpr 256
		.amdhsa_next_free_sgpr 44
		.amdhsa_reserve_vcc 1
		.amdhsa_float_round_mode_32 0
		.amdhsa_float_round_mode_16_64 0
		.amdhsa_float_denorm_mode_32 3
		.amdhsa_float_denorm_mode_16_64 3
		.amdhsa_dx10_clamp 1
		.amdhsa_ieee_mode 1
		.amdhsa_fp16_overflow 0
		.amdhsa_workgroup_processor_mode 1
		.amdhsa_memory_ordered 1
		.amdhsa_forward_progress 0
		.amdhsa_shared_vgpr_count 0
		.amdhsa_exception_fp_ieee_invalid_op 0
		.amdhsa_exception_fp_denorm_src 0
		.amdhsa_exception_fp_ieee_div_zero 0
		.amdhsa_exception_fp_ieee_overflow 0
		.amdhsa_exception_fp_ieee_underflow 0
		.amdhsa_exception_fp_ieee_inexact 0
		.amdhsa_exception_int_div_zero 0
	.end_amdhsa_kernel
	.text
.Lfunc_end0:
	.size	bluestein_single_back_len1300_dim1_dp_op_CI_CI, .Lfunc_end0-bluestein_single_back_len1300_dim1_dp_op_CI_CI
                                        ; -- End function
	.section	.AMDGPU.csdata,"",@progbits
; Kernel info:
; codeLenInByte = 19884
; NumSgprs: 46
; NumVgprs: 256
; ScratchSize: 408
; MemoryBound: 0
; FloatMode: 240
; IeeeMode: 1
; LDSByteSize: 20800 bytes/workgroup (compile time only)
; SGPRBlocks: 5
; VGPRBlocks: 31
; NumSGPRsForWavesPerEU: 46
; NumVGPRsForWavesPerEU: 256
; Occupancy: 5
; WaveLimiterHint : 1
; COMPUTE_PGM_RSRC2:SCRATCH_EN: 1
; COMPUTE_PGM_RSRC2:USER_SGPR: 15
; COMPUTE_PGM_RSRC2:TRAP_HANDLER: 0
; COMPUTE_PGM_RSRC2:TGID_X_EN: 1
; COMPUTE_PGM_RSRC2:TGID_Y_EN: 0
; COMPUTE_PGM_RSRC2:TGID_Z_EN: 0
; COMPUTE_PGM_RSRC2:TIDIG_COMP_CNT: 0
	.text
	.p2alignl 7, 3214868480
	.fill 96, 4, 3214868480
	.type	__hip_cuid_1f8ce4db1de06bb7,@object ; @__hip_cuid_1f8ce4db1de06bb7
	.section	.bss,"aw",@nobits
	.globl	__hip_cuid_1f8ce4db1de06bb7
__hip_cuid_1f8ce4db1de06bb7:
	.byte	0                               ; 0x0
	.size	__hip_cuid_1f8ce4db1de06bb7, 1

	.ident	"AMD clang version 19.0.0git (https://github.com/RadeonOpenCompute/llvm-project roc-6.4.0 25133 c7fe45cf4b819c5991fe208aaa96edf142730f1d)"
	.section	".note.GNU-stack","",@progbits
	.addrsig
	.addrsig_sym __hip_cuid_1f8ce4db1de06bb7
	.amdgpu_metadata
---
amdhsa.kernels:
  - .args:
      - .actual_access:  read_only
        .address_space:  global
        .offset:         0
        .size:           8
        .value_kind:     global_buffer
      - .actual_access:  read_only
        .address_space:  global
        .offset:         8
        .size:           8
        .value_kind:     global_buffer
      - .actual_access:  read_only
        .address_space:  global
        .offset:         16
        .size:           8
        .value_kind:     global_buffer
      - .actual_access:  read_only
        .address_space:  global
        .offset:         24
        .size:           8
        .value_kind:     global_buffer
      - .actual_access:  read_only
        .address_space:  global
        .offset:         32
        .size:           8
        .value_kind:     global_buffer
      - .offset:         40
        .size:           8
        .value_kind:     by_value
      - .address_space:  global
        .offset:         48
        .size:           8
        .value_kind:     global_buffer
      - .address_space:  global
        .offset:         56
        .size:           8
        .value_kind:     global_buffer
      - .address_space:  global
        .offset:         64
        .size:           8
        .value_kind:     global_buffer
      - .address_space:  global
        .offset:         72
        .size:           8
        .value_kind:     global_buffer
      - .offset:         80
        .size:           4
        .value_kind:     by_value
      - .address_space:  global
        .offset:         88
        .size:           8
        .value_kind:     global_buffer
      - .address_space:  global
        .offset:         96
        .size:           8
        .value_kind:     global_buffer
    .group_segment_fixed_size: 20800
    .kernarg_segment_align: 8
    .kernarg_segment_size: 104
    .language:       OpenCL C
    .language_version:
      - 2
      - 0
    .max_flat_workgroup_size: 130
    .name:           bluestein_single_back_len1300_dim1_dp_op_CI_CI
    .private_segment_fixed_size: 408
    .sgpr_count:     46
    .sgpr_spill_count: 0
    .symbol:         bluestein_single_back_len1300_dim1_dp_op_CI_CI.kd
    .uniform_work_group_size: 1
    .uses_dynamic_stack: false
    .vgpr_count:     256
    .vgpr_spill_count: 101
    .wavefront_size: 32
    .workgroup_processor_mode: 1
amdhsa.target:   amdgcn-amd-amdhsa--gfx1100
amdhsa.version:
  - 1
  - 2
...

	.end_amdgpu_metadata
